;; amdgpu-corpus repo=ROCm/rccl kind=compiled arch=gfx90a opt=O3
	.text
	.amdgcn_target "amdgcn-amd-amdhsa--gfx90a"
	.amdhsa_code_object_version 6
	.p2align	2                               ; -- Begin function __ockl_fprintf_append_string_n
	.type	__ockl_fprintf_append_string_n,@function
__ockl_fprintf_append_string_n:         ; @__ockl_fprintf_append_string_n
; %bb.0:
	s_waitcnt vmcnt(0) expcnt(0) lgkmcnt(0)
	v_mov_b32_e32 v9, v3
	v_mov_b32_e32 v8, v2
	v_or_b32_e32 v2, 2, v0
	v_cmp_eq_u32_e32 vcc, 0, v6
	s_mov_b32 s22, 0
	v_cndmask_b32_e32 v0, v2, v0, vcc
	s_mov_b64 s[6:7], 0
	v_cmp_ne_u64_e32 vcc, 0, v[8:9]
	v_mbcnt_lo_u32_b32 v2, -1, 0
	s_and_saveexec_b64 s[4:5], vcc
	s_xor_b64 s[10:11], exec, s[4:5]
	s_cbranch_execz .LBB0_86
; %bb.1:
	s_load_dwordx2 s[12:13], s[8:9], 0x50
	v_and_b32_e32 v6, 2, v0
	v_mov_b32_e32 v31, 0
	v_and_b32_e32 v0, -3, v0
	v_mbcnt_hi_u32_b32 v32, -1, v2
	s_movk_i32 s23, 0xff1f
	v_mov_b32_e32 v12, 2
	v_mov_b32_e32 v13, 1
	s_branch .LBB0_3
.LBB0_2:                                ;   in Loop: Header=BB0_3 Depth=1
	s_or_b64 exec, exec, s[16:17]
	v_sub_co_u32_e32 v4, vcc, v4, v34
	v_subb_co_u32_e32 v5, vcc, v5, v35, vcc
	v_cmp_eq_u64_e32 vcc, 0, v[4:5]
	s_or_b64 s[6:7], vcc, s[6:7]
	v_add_co_u32_e32 v8, vcc, v8, v34
	v_addc_co_u32_e32 v9, vcc, v9, v35, vcc
	s_andn2_b64 exec, exec, s[6:7]
	s_cbranch_execz .LBB0_85
.LBB0_3:                                ; =>This Loop Header: Depth=1
                                        ;     Child Loop BB0_6 Depth 2
                                        ;     Child Loop BB0_14 Depth 2
	;; [unrolled: 1-line block ×11, first 2 shown]
	v_cmp_gt_u64_e32 vcc, 56, v[4:5]
	v_cndmask_b32_e32 v35, 0, v5, vcc
	v_cndmask_b32_e32 v34, 56, v4, vcc
	v_cmp_gt_u64_e32 vcc, 8, v[4:5]
                                        ; implicit-def: $vgpr2_vgpr3
                                        ; implicit-def: $sgpr14
	s_and_saveexec_b64 s[4:5], vcc
	s_xor_b64 s[4:5], exec, s[4:5]
	s_cbranch_execz .LBB0_9
; %bb.4:                                ;   in Loop: Header=BB0_3 Depth=1
	s_mov_b64 s[16:17], 0
	v_cmp_ne_u64_e32 vcc, 0, v[4:5]
	s_waitcnt vmcnt(0)
	v_pk_mov_b32 v[2:3], 0, 0
	s_and_saveexec_b64 s[14:15], vcc
	s_cbranch_execz .LBB0_8
; %bb.5:                                ;   in Loop: Header=BB0_3 Depth=1
	v_lshlrev_b64 v[10:11], 3, v[34:35]
	v_pk_mov_b32 v[2:3], 0, 0
	v_pk_mov_b32 v[14:15], v[8:9], v[8:9] op_sel:[0,1]
	s_mov_b64 s[18:19], 0
.LBB0_6:                                ;   Parent Loop BB0_3 Depth=1
                                        ; =>  This Inner Loop Header: Depth=2
	flat_load_ubyte v7, v[14:15]
	v_mov_b32_e32 v17, s22
	v_add_co_u32_e32 v14, vcc, 1, v14
	v_addc_co_u32_e32 v15, vcc, 0, v15, vcc
	s_waitcnt vmcnt(0) lgkmcnt(0)
	v_and_b32_e32 v16, 0xffff, v7
	v_lshlrev_b64 v[16:17], s18, v[16:17]
	s_add_u32 s18, s18, 8
	s_addc_u32 s19, s19, 0
	v_cmp_eq_u32_e32 vcc, s18, v10
	v_or_b32_e32 v3, v17, v3
	s_or_b64 s[16:17], vcc, s[16:17]
	v_or_b32_e32 v2, v16, v2
	s_andn2_b64 exec, exec, s[16:17]
	s_cbranch_execnz .LBB0_6
; %bb.7:                                ;   in Loop: Header=BB0_3 Depth=1
	s_or_b64 exec, exec, s[16:17]
.LBB0_8:                                ;   in Loop: Header=BB0_3 Depth=1
	s_or_b64 exec, exec, s[14:15]
	s_mov_b32 s14, 0
.LBB0_9:                                ;   in Loop: Header=BB0_3 Depth=1
	s_or_saveexec_b64 s[4:5], s[4:5]
	v_mov_b32_e32 v7, s14
	v_pk_mov_b32 v[10:11], v[8:9], v[8:9] op_sel:[0,1]
	s_xor_b64 exec, exec, s[4:5]
	s_cbranch_execz .LBB0_11
; %bb.10:                               ;   in Loop: Header=BB0_3 Depth=1
	s_waitcnt vmcnt(0)
	flat_load_dwordx2 v[2:3], v[8:9]
	v_add_u32_e32 v7, -8, v34
	s_waitcnt vmcnt(0) lgkmcnt(0)
	v_and_b32_e32 v10, 0xff, v3
	v_and_b32_e32 v11, 0xff00, v3
	;; [unrolled: 1-line block ×4, first 2 shown]
	v_or_b32_e32 v10, v10, v11
	v_or3_b32 v3, v10, v14, v3
	v_add_co_u32_e32 v10, vcc, 8, v8
	v_or3_b32 v2, v2, 0, 0
	v_addc_co_u32_e32 v11, vcc, 0, v9, vcc
.LBB0_11:                               ;   in Loop: Header=BB0_3 Depth=1
	s_or_b64 exec, exec, s[4:5]
	v_cmp_gt_u32_e32 vcc, 8, v7
                                        ; implicit-def: $vgpr14_vgpr15
                                        ; implicit-def: $sgpr14
	s_and_saveexec_b64 s[4:5], vcc
	s_xor_b64 s[4:5], exec, s[4:5]
	s_cbranch_execz .LBB0_17
; %bb.12:                               ;   in Loop: Header=BB0_3 Depth=1
	v_cmp_ne_u32_e32 vcc, 0, v7
	v_pk_mov_b32 v[14:15], 0, 0
	s_and_saveexec_b64 s[14:15], vcc
	s_cbranch_execz .LBB0_16
; %bb.13:                               ;   in Loop: Header=BB0_3 Depth=1
	s_mov_b64 s[16:17], 0
	v_pk_mov_b32 v[14:15], 0, 0
	s_mov_b64 s[18:19], 0
	s_mov_b64 s[20:21], 0
.LBB0_14:                               ;   Parent Loop BB0_3 Depth=1
                                        ; =>  This Inner Loop Header: Depth=2
	v_mov_b32_e32 v17, s21
	v_add_co_u32_e32 v16, vcc, s20, v10
	v_addc_co_u32_e32 v17, vcc, v11, v17, vcc
	flat_load_ubyte v16, v[16:17]
	s_add_u32 s20, s20, 1
	v_mov_b32_e32 v17, s22
	s_addc_u32 s21, s21, 0
	v_cmp_eq_u32_e32 vcc, s20, v7
	s_waitcnt vmcnt(0) lgkmcnt(0)
	v_and_b32_e32 v16, 0xffff, v16
	v_lshlrev_b64 v[16:17], s18, v[16:17]
	s_add_u32 s18, s18, 8
	s_addc_u32 s19, s19, 0
	v_or_b32_e32 v15, v17, v15
	s_or_b64 s[16:17], vcc, s[16:17]
	v_or_b32_e32 v14, v16, v14
	s_andn2_b64 exec, exec, s[16:17]
	s_cbranch_execnz .LBB0_14
; %bb.15:                               ;   in Loop: Header=BB0_3 Depth=1
	s_or_b64 exec, exec, s[16:17]
.LBB0_16:                               ;   in Loop: Header=BB0_3 Depth=1
	s_or_b64 exec, exec, s[14:15]
	s_mov_b32 s14, 0
                                        ; implicit-def: $vgpr7
.LBB0_17:                               ;   in Loop: Header=BB0_3 Depth=1
	s_or_saveexec_b64 s[4:5], s[4:5]
	v_mov_b32_e32 v18, s14
	s_xor_b64 exec, exec, s[4:5]
	s_cbranch_execz .LBB0_19
; %bb.18:                               ;   in Loop: Header=BB0_3 Depth=1
	flat_load_dwordx2 v[14:15], v[10:11]
	v_add_u32_e32 v18, -8, v7
	v_add_co_u32_e32 v10, vcc, 8, v10
	v_addc_co_u32_e32 v11, vcc, 0, v11, vcc
	s_waitcnt vmcnt(0) lgkmcnt(0)
	v_and_b32_e32 v7, 0xff, v15
	v_and_b32_e32 v16, 0xff00, v15
	;; [unrolled: 1-line block ×4, first 2 shown]
	v_or_b32_e32 v7, v7, v16
	v_or3_b32 v14, v14, 0, 0
	v_or3_b32 v15, v7, v17, v15
.LBB0_19:                               ;   in Loop: Header=BB0_3 Depth=1
	s_or_b64 exec, exec, s[4:5]
	v_cmp_gt_u32_e32 vcc, 8, v18
                                        ; implicit-def: $sgpr14
	s_and_saveexec_b64 s[4:5], vcc
	s_xor_b64 s[4:5], exec, s[4:5]
	s_cbranch_execz .LBB0_25
; %bb.20:                               ;   in Loop: Header=BB0_3 Depth=1
	v_cmp_ne_u32_e32 vcc, 0, v18
	v_pk_mov_b32 v[16:17], 0, 0
	s_and_saveexec_b64 s[14:15], vcc
	s_cbranch_execz .LBB0_24
; %bb.21:                               ;   in Loop: Header=BB0_3 Depth=1
	s_mov_b64 s[16:17], 0
	v_pk_mov_b32 v[16:17], 0, 0
	s_mov_b64 s[18:19], 0
	s_mov_b64 s[20:21], 0
.LBB0_22:                               ;   Parent Loop BB0_3 Depth=1
                                        ; =>  This Inner Loop Header: Depth=2
	v_mov_b32_e32 v7, s21
	v_add_co_u32_e32 v20, vcc, s20, v10
	v_addc_co_u32_e32 v21, vcc, v11, v7, vcc
	flat_load_ubyte v7, v[20:21]
	s_add_u32 s20, s20, 1
	v_mov_b32_e32 v21, s22
	s_addc_u32 s21, s21, 0
	v_cmp_eq_u32_e32 vcc, s20, v18
	s_waitcnt vmcnt(0) lgkmcnt(0)
	v_and_b32_e32 v20, 0xffff, v7
	v_lshlrev_b64 v[20:21], s18, v[20:21]
	s_add_u32 s18, s18, 8
	s_addc_u32 s19, s19, 0
	v_or_b32_e32 v17, v21, v17
	s_or_b64 s[16:17], vcc, s[16:17]
	v_or_b32_e32 v16, v20, v16
	s_andn2_b64 exec, exec, s[16:17]
	s_cbranch_execnz .LBB0_22
; %bb.23:                               ;   in Loop: Header=BB0_3 Depth=1
	s_or_b64 exec, exec, s[16:17]
.LBB0_24:                               ;   in Loop: Header=BB0_3 Depth=1
	s_or_b64 exec, exec, s[14:15]
	s_mov_b32 s14, 0
                                        ; implicit-def: $vgpr18
.LBB0_25:                               ;   in Loop: Header=BB0_3 Depth=1
	s_or_saveexec_b64 s[4:5], s[4:5]
	v_mov_b32_e32 v7, s14
	s_xor_b64 exec, exec, s[4:5]
	s_cbranch_execz .LBB0_27
; %bb.26:                               ;   in Loop: Header=BB0_3 Depth=1
	flat_load_dwordx2 v[16:17], v[10:11]
	v_add_u32_e32 v7, -8, v18
	v_add_co_u32_e32 v10, vcc, 8, v10
	v_addc_co_u32_e32 v11, vcc, 0, v11, vcc
	s_waitcnt vmcnt(0) lgkmcnt(0)
	v_and_b32_e32 v18, 0xff, v17
	v_and_b32_e32 v19, 0xff00, v17
	;; [unrolled: 1-line block ×4, first 2 shown]
	v_or_b32_e32 v18, v18, v19
	v_or3_b32 v16, v16, 0, 0
	v_or3_b32 v17, v18, v20, v17
.LBB0_27:                               ;   in Loop: Header=BB0_3 Depth=1
	s_or_b64 exec, exec, s[4:5]
	v_cmp_gt_u32_e32 vcc, 8, v7
                                        ; implicit-def: $vgpr18_vgpr19
                                        ; implicit-def: $sgpr14
	s_and_saveexec_b64 s[4:5], vcc
	s_xor_b64 s[4:5], exec, s[4:5]
	s_cbranch_execz .LBB0_33
; %bb.28:                               ;   in Loop: Header=BB0_3 Depth=1
	v_cmp_ne_u32_e32 vcc, 0, v7
	v_pk_mov_b32 v[18:19], 0, 0
	s_and_saveexec_b64 s[14:15], vcc
	s_cbranch_execz .LBB0_32
; %bb.29:                               ;   in Loop: Header=BB0_3 Depth=1
	s_mov_b64 s[16:17], 0
	v_pk_mov_b32 v[18:19], 0, 0
	s_mov_b64 s[18:19], 0
	s_mov_b64 s[20:21], 0
.LBB0_30:                               ;   Parent Loop BB0_3 Depth=1
                                        ; =>  This Inner Loop Header: Depth=2
	v_mov_b32_e32 v21, s21
	v_add_co_u32_e32 v20, vcc, s20, v10
	v_addc_co_u32_e32 v21, vcc, v11, v21, vcc
	flat_load_ubyte v20, v[20:21]
	s_add_u32 s20, s20, 1
	v_mov_b32_e32 v21, s22
	s_addc_u32 s21, s21, 0
	v_cmp_eq_u32_e32 vcc, s20, v7
	s_waitcnt vmcnt(0) lgkmcnt(0)
	v_and_b32_e32 v20, 0xffff, v20
	v_lshlrev_b64 v[20:21], s18, v[20:21]
	s_add_u32 s18, s18, 8
	s_addc_u32 s19, s19, 0
	v_or_b32_e32 v19, v21, v19
	s_or_b64 s[16:17], vcc, s[16:17]
	v_or_b32_e32 v18, v20, v18
	s_andn2_b64 exec, exec, s[16:17]
	s_cbranch_execnz .LBB0_30
; %bb.31:                               ;   in Loop: Header=BB0_3 Depth=1
	s_or_b64 exec, exec, s[16:17]
.LBB0_32:                               ;   in Loop: Header=BB0_3 Depth=1
	s_or_b64 exec, exec, s[14:15]
	s_mov_b32 s14, 0
                                        ; implicit-def: $vgpr7
.LBB0_33:                               ;   in Loop: Header=BB0_3 Depth=1
	s_or_saveexec_b64 s[4:5], s[4:5]
	v_mov_b32_e32 v22, s14
	s_xor_b64 exec, exec, s[4:5]
	s_cbranch_execz .LBB0_35
; %bb.34:                               ;   in Loop: Header=BB0_3 Depth=1
	flat_load_dwordx2 v[18:19], v[10:11]
	v_add_u32_e32 v22, -8, v7
	v_add_co_u32_e32 v10, vcc, 8, v10
	v_addc_co_u32_e32 v11, vcc, 0, v11, vcc
	s_waitcnt vmcnt(0) lgkmcnt(0)
	v_and_b32_e32 v7, 0xff, v19
	v_and_b32_e32 v20, 0xff00, v19
	;; [unrolled: 1-line block ×4, first 2 shown]
	v_or_b32_e32 v7, v7, v20
	v_or3_b32 v18, v18, 0, 0
	v_or3_b32 v19, v7, v21, v19
.LBB0_35:                               ;   in Loop: Header=BB0_3 Depth=1
	s_or_b64 exec, exec, s[4:5]
	v_cmp_gt_u32_e32 vcc, 8, v22
                                        ; implicit-def: $sgpr14
	s_and_saveexec_b64 s[4:5], vcc
	s_xor_b64 s[4:5], exec, s[4:5]
	s_cbranch_execz .LBB0_41
; %bb.36:                               ;   in Loop: Header=BB0_3 Depth=1
	v_cmp_ne_u32_e32 vcc, 0, v22
	v_pk_mov_b32 v[20:21], 0, 0
	s_and_saveexec_b64 s[14:15], vcc
	s_cbranch_execz .LBB0_40
; %bb.37:                               ;   in Loop: Header=BB0_3 Depth=1
	s_mov_b64 s[16:17], 0
	v_pk_mov_b32 v[20:21], 0, 0
	s_mov_b64 s[18:19], 0
	s_mov_b64 s[20:21], 0
.LBB0_38:                               ;   Parent Loop BB0_3 Depth=1
                                        ; =>  This Inner Loop Header: Depth=2
	v_mov_b32_e32 v7, s21
	v_add_co_u32_e32 v24, vcc, s20, v10
	v_addc_co_u32_e32 v25, vcc, v11, v7, vcc
	flat_load_ubyte v7, v[24:25]
	s_add_u32 s20, s20, 1
	v_mov_b32_e32 v25, s22
	s_addc_u32 s21, s21, 0
	v_cmp_eq_u32_e32 vcc, s20, v22
	s_waitcnt vmcnt(0) lgkmcnt(0)
	v_and_b32_e32 v24, 0xffff, v7
	v_lshlrev_b64 v[24:25], s18, v[24:25]
	s_add_u32 s18, s18, 8
	s_addc_u32 s19, s19, 0
	v_or_b32_e32 v21, v25, v21
	s_or_b64 s[16:17], vcc, s[16:17]
	v_or_b32_e32 v20, v24, v20
	s_andn2_b64 exec, exec, s[16:17]
	s_cbranch_execnz .LBB0_38
; %bb.39:                               ;   in Loop: Header=BB0_3 Depth=1
	s_or_b64 exec, exec, s[16:17]
.LBB0_40:                               ;   in Loop: Header=BB0_3 Depth=1
	s_or_b64 exec, exec, s[14:15]
	s_mov_b32 s14, 0
                                        ; implicit-def: $vgpr22
.LBB0_41:                               ;   in Loop: Header=BB0_3 Depth=1
	s_or_saveexec_b64 s[4:5], s[4:5]
	v_mov_b32_e32 v7, s14
	s_xor_b64 exec, exec, s[4:5]
	s_cbranch_execz .LBB0_43
; %bb.42:                               ;   in Loop: Header=BB0_3 Depth=1
	flat_load_dwordx2 v[20:21], v[10:11]
	v_add_u32_e32 v7, -8, v22
	v_add_co_u32_e32 v10, vcc, 8, v10
	v_addc_co_u32_e32 v11, vcc, 0, v11, vcc
	s_waitcnt vmcnt(0) lgkmcnt(0)
	v_and_b32_e32 v22, 0xff, v21
	v_and_b32_e32 v23, 0xff00, v21
	;; [unrolled: 1-line block ×4, first 2 shown]
	v_or_b32_e32 v22, v22, v23
	v_or3_b32 v20, v20, 0, 0
	v_or3_b32 v21, v22, v24, v21
.LBB0_43:                               ;   in Loop: Header=BB0_3 Depth=1
	s_or_b64 exec, exec, s[4:5]
	v_cmp_gt_u32_e32 vcc, 8, v7
                                        ; implicit-def: $vgpr22_vgpr23
                                        ; implicit-def: $sgpr14
	s_and_saveexec_b64 s[4:5], vcc
	s_xor_b64 s[4:5], exec, s[4:5]
	s_cbranch_execz .LBB0_49
; %bb.44:                               ;   in Loop: Header=BB0_3 Depth=1
	v_cmp_ne_u32_e32 vcc, 0, v7
	v_pk_mov_b32 v[22:23], 0, 0
	s_and_saveexec_b64 s[14:15], vcc
	s_cbranch_execz .LBB0_48
; %bb.45:                               ;   in Loop: Header=BB0_3 Depth=1
	s_mov_b64 s[16:17], 0
	v_pk_mov_b32 v[22:23], 0, 0
	s_mov_b64 s[18:19], 0
	s_mov_b64 s[20:21], 0
.LBB0_46:                               ;   Parent Loop BB0_3 Depth=1
                                        ; =>  This Inner Loop Header: Depth=2
	v_mov_b32_e32 v25, s21
	v_add_co_u32_e32 v24, vcc, s20, v10
	v_addc_co_u32_e32 v25, vcc, v11, v25, vcc
	flat_load_ubyte v24, v[24:25]
	s_add_u32 s20, s20, 1
	v_mov_b32_e32 v25, s22
	s_addc_u32 s21, s21, 0
	v_cmp_eq_u32_e32 vcc, s20, v7
	s_waitcnt vmcnt(0) lgkmcnt(0)
	v_and_b32_e32 v24, 0xffff, v24
	v_lshlrev_b64 v[24:25], s18, v[24:25]
	s_add_u32 s18, s18, 8
	s_addc_u32 s19, s19, 0
	v_or_b32_e32 v23, v25, v23
	s_or_b64 s[16:17], vcc, s[16:17]
	v_or_b32_e32 v22, v24, v22
	s_andn2_b64 exec, exec, s[16:17]
	s_cbranch_execnz .LBB0_46
; %bb.47:                               ;   in Loop: Header=BB0_3 Depth=1
	s_or_b64 exec, exec, s[16:17]
.LBB0_48:                               ;   in Loop: Header=BB0_3 Depth=1
	s_or_b64 exec, exec, s[14:15]
	s_mov_b32 s14, 0
                                        ; implicit-def: $vgpr7
.LBB0_49:                               ;   in Loop: Header=BB0_3 Depth=1
	s_or_saveexec_b64 s[4:5], s[4:5]
	v_mov_b32_e32 v26, s14
	s_xor_b64 exec, exec, s[4:5]
	s_cbranch_execz .LBB0_51
; %bb.50:                               ;   in Loop: Header=BB0_3 Depth=1
	flat_load_dwordx2 v[22:23], v[10:11]
	v_add_u32_e32 v26, -8, v7
	v_add_co_u32_e32 v10, vcc, 8, v10
	v_addc_co_u32_e32 v11, vcc, 0, v11, vcc
	s_waitcnt vmcnt(0) lgkmcnt(0)
	v_and_b32_e32 v7, 0xff, v23
	v_and_b32_e32 v24, 0xff00, v23
	v_and_b32_e32 v25, 0xff0000, v23
	v_and_b32_e32 v23, 0xff000000, v23
	v_or_b32_e32 v7, v7, v24
	v_or3_b32 v22, v22, 0, 0
	v_or3_b32 v23, v7, v25, v23
.LBB0_51:                               ;   in Loop: Header=BB0_3 Depth=1
	s_or_b64 exec, exec, s[4:5]
	v_cmp_gt_u32_e32 vcc, 8, v26
	s_and_saveexec_b64 s[4:5], vcc
	s_xor_b64 s[4:5], exec, s[4:5]
	s_cbranch_execz .LBB0_57
; %bb.52:                               ;   in Loop: Header=BB0_3 Depth=1
	v_cmp_ne_u32_e32 vcc, 0, v26
	v_pk_mov_b32 v[24:25], 0, 0
	s_and_saveexec_b64 s[14:15], vcc
	s_cbranch_execz .LBB0_56
; %bb.53:                               ;   in Loop: Header=BB0_3 Depth=1
	s_mov_b64 s[16:17], 0
	v_pk_mov_b32 v[24:25], 0, 0
	s_mov_b64 s[18:19], 0
.LBB0_54:                               ;   Parent Loop BB0_3 Depth=1
                                        ; =>  This Inner Loop Header: Depth=2
	flat_load_ubyte v7, v[10:11]
	v_mov_b32_e32 v29, s22
	v_add_co_u32_e32 v10, vcc, 1, v10
	v_add_u32_e32 v26, -1, v26
	v_addc_co_u32_e32 v11, vcc, 0, v11, vcc
	v_cmp_eq_u32_e32 vcc, 0, v26
	s_waitcnt vmcnt(0) lgkmcnt(0)
	v_and_b32_e32 v28, 0xffff, v7
	v_lshlrev_b64 v[28:29], s18, v[28:29]
	s_add_u32 s18, s18, 8
	s_addc_u32 s19, s19, 0
	v_or_b32_e32 v25, v29, v25
	s_or_b64 s[16:17], vcc, s[16:17]
	v_or_b32_e32 v24, v28, v24
	s_andn2_b64 exec, exec, s[16:17]
	s_cbranch_execnz .LBB0_54
; %bb.55:                               ;   in Loop: Header=BB0_3 Depth=1
	s_or_b64 exec, exec, s[16:17]
.LBB0_56:                               ;   in Loop: Header=BB0_3 Depth=1
	s_or_b64 exec, exec, s[14:15]
                                        ; implicit-def: $vgpr10_vgpr11
.LBB0_57:                               ;   in Loop: Header=BB0_3 Depth=1
	s_andn2_saveexec_b64 s[4:5], s[4:5]
	s_cbranch_execz .LBB0_59
; %bb.58:                               ;   in Loop: Header=BB0_3 Depth=1
	flat_load_dwordx2 v[10:11], v[10:11]
	s_waitcnt vmcnt(0) lgkmcnt(0)
	v_and_b32_e32 v7, 0xff, v11
	v_and_b32_e32 v24, 0xff00, v11
	;; [unrolled: 1-line block ×4, first 2 shown]
	v_or_b32_e32 v7, v7, v24
	v_or3_b32 v25, v7, v25, v11
	v_or3_b32 v24, v10, 0, 0
.LBB0_59:                               ;   in Loop: Header=BB0_3 Depth=1
	s_or_b64 exec, exec, s[4:5]
	v_readfirstlane_b32 s4, v32
	v_cmp_eq_u32_e64 s[4:5], s4, v32
	v_pk_mov_b32 v[10:11], 0, 0
	s_and_saveexec_b64 s[14:15], s[4:5]
	s_cbranch_execz .LBB0_65
; %bb.60:                               ;   in Loop: Header=BB0_3 Depth=1
	s_waitcnt lgkmcnt(0)
	global_load_dwordx2 v[28:29], v31, s[12:13] offset:24 glc
	s_waitcnt vmcnt(0)
	buffer_invl2
	buffer_wbinvl1_vol
	global_load_dwordx2 v[10:11], v31, s[12:13] offset:40
	global_load_dwordx2 v[26:27], v31, s[12:13]
	s_waitcnt vmcnt(1)
	v_and_b32_e32 v7, v10, v28
	v_and_b32_e32 v10, v11, v29
	v_mul_lo_u32 v10, v10, 24
	v_mul_hi_u32 v11, v7, 24
	v_mul_lo_u32 v7, v7, 24
	v_add_u32_e32 v11, v11, v10
	s_waitcnt vmcnt(0)
	v_add_co_u32_e32 v10, vcc, v26, v7
	v_addc_co_u32_e32 v11, vcc, v27, v11, vcc
	global_load_dwordx2 v[26:27], v[10:11], off glc
	s_waitcnt vmcnt(0)
	global_atomic_cmpswap_x2 v[10:11], v31, v[26:29], s[12:13] offset:24 glc
	s_waitcnt vmcnt(0)
	buffer_invl2
	buffer_wbinvl1_vol
	v_cmp_ne_u64_e32 vcc, v[10:11], v[28:29]
	s_and_saveexec_b64 s[16:17], vcc
	s_cbranch_execz .LBB0_64
; %bb.61:                               ;   in Loop: Header=BB0_3 Depth=1
	s_mov_b64 s[18:19], 0
.LBB0_62:                               ;   Parent Loop BB0_3 Depth=1
                                        ; =>  This Inner Loop Header: Depth=2
	s_sleep 1
	global_load_dwordx2 v[26:27], v31, s[12:13] offset:40
	global_load_dwordx2 v[36:37], v31, s[12:13]
	v_pk_mov_b32 v[28:29], v[10:11], v[10:11] op_sel:[0,1]
	s_waitcnt vmcnt(1)
	v_and_b32_e32 v10, v26, v28
	s_waitcnt vmcnt(0)
	v_mad_u64_u32 v[10:11], s[20:21], v10, 24, v[36:37]
	v_and_b32_e32 v7, v27, v29
	v_mov_b32_e32 v26, v11
	v_mad_u64_u32 v[26:27], s[20:21], v7, 24, v[26:27]
	v_mov_b32_e32 v11, v26
	global_load_dwordx2 v[26:27], v[10:11], off glc
	s_waitcnt vmcnt(0)
	global_atomic_cmpswap_x2 v[10:11], v31, v[26:29], s[12:13] offset:24 glc
	s_waitcnt vmcnt(0)
	buffer_invl2
	buffer_wbinvl1_vol
	v_cmp_eq_u64_e32 vcc, v[10:11], v[28:29]
	s_or_b64 s[18:19], vcc, s[18:19]
	s_andn2_b64 exec, exec, s[18:19]
	s_cbranch_execnz .LBB0_62
; %bb.63:                               ;   in Loop: Header=BB0_3 Depth=1
	s_or_b64 exec, exec, s[18:19]
.LBB0_64:                               ;   in Loop: Header=BB0_3 Depth=1
	s_or_b64 exec, exec, s[16:17]
.LBB0_65:                               ;   in Loop: Header=BB0_3 Depth=1
	s_or_b64 exec, exec, s[14:15]
	s_waitcnt lgkmcnt(0)
	global_load_dwordx2 v[36:37], v31, s[12:13] offset:40
	global_load_dwordx4 v[26:29], v31, s[12:13]
	v_readfirstlane_b32 s14, v10
	v_readfirstlane_b32 s15, v11
	s_mov_b64 s[16:17], exec
	s_waitcnt vmcnt(1)
	v_readfirstlane_b32 s18, v36
	v_readfirstlane_b32 s19, v37
	s_and_b64 s[18:19], s[14:15], s[18:19]
	s_mul_i32 s20, s19, 24
	s_mul_hi_u32 s21, s18, 24
	s_mul_i32 s24, s18, 24
	s_add_i32 s20, s21, s20
	v_mov_b32_e32 v7, s20
	s_waitcnt vmcnt(0)
	v_add_co_u32_e32 v36, vcc, s24, v26
	v_addc_co_u32_e32 v37, vcc, v27, v7, vcc
	s_and_saveexec_b64 s[20:21], s[4:5]
	s_cbranch_execz .LBB0_67
; %bb.66:                               ;   in Loop: Header=BB0_3 Depth=1
	v_pk_mov_b32 v[10:11], s[16:17], s[16:17] op_sel:[0,1]
	global_store_dwordx4 v[36:37], v[10:13], off offset:8
.LBB0_67:                               ;   in Loop: Header=BB0_3 Depth=1
	s_or_b64 exec, exec, s[20:21]
	s_lshl_b64 s[16:17], s[18:19], 12
	v_mov_b32_e32 v7, s17
	v_add_co_u32_e32 v10, vcc, s16, v28
	v_addc_co_u32_e32 v7, vcc, v29, v7, vcc
	v_or_b32_e32 v11, 0, v1
	v_cmp_lt_u64_e32 vcc, 56, v[4:5]
	v_or_b32_e32 v28, v0, v6
	v_cndmask_b32_e32 v1, v11, v1, vcc
	v_lshl_add_u32 v11, v34, 2, 28
	v_cndmask_b32_e32 v0, v28, v0, vcc
	v_and_b32_e32 v11, 0x1e0, v11
	v_and_or_b32 v0, v0, s23, v11
	v_lshlrev_b32_e32 v11, 6, v32
	v_readfirstlane_b32 s16, v10
	v_readfirstlane_b32 s17, v7
	s_nop 4
	global_store_dwordx4 v11, v[0:3], s[16:17]
	global_store_dwordx4 v11, v[14:17], s[16:17] offset:16
	global_store_dwordx4 v11, v[18:21], s[16:17] offset:32
	;; [unrolled: 1-line block ×3, first 2 shown]
	s_and_saveexec_b64 s[16:17], s[4:5]
	s_cbranch_execz .LBB0_75
; %bb.68:                               ;   in Loop: Header=BB0_3 Depth=1
	global_load_dwordx2 v[18:19], v31, s[12:13] offset:32 glc
	global_load_dwordx2 v[0:1], v31, s[12:13] offset:40
	v_mov_b32_e32 v16, s14
	v_mov_b32_e32 v17, s15
	s_waitcnt vmcnt(0)
	v_readfirstlane_b32 s18, v0
	v_readfirstlane_b32 s19, v1
	s_and_b64 s[18:19], s[18:19], s[14:15]
	s_mul_i32 s19, s19, 24
	s_mul_hi_u32 s20, s18, 24
	s_mul_i32 s18, s18, 24
	s_add_i32 s19, s20, s19
	v_mov_b32_e32 v0, s19
	v_add_co_u32_e32 v14, vcc, s18, v26
	v_addc_co_u32_e32 v15, vcc, v27, v0, vcc
	global_store_dwordx2 v[14:15], v[18:19], off
	buffer_wbl2
	s_waitcnt vmcnt(0)
	global_atomic_cmpswap_x2 v[2:3], v31, v[16:19], s[12:13] offset:32 glc
	s_waitcnt vmcnt(0)
	v_cmp_ne_u64_e32 vcc, v[2:3], v[18:19]
	s_and_saveexec_b64 s[18:19], vcc
	s_cbranch_execz .LBB0_71
; %bb.69:                               ;   in Loop: Header=BB0_3 Depth=1
	s_mov_b64 s[20:21], 0
.LBB0_70:                               ;   Parent Loop BB0_3 Depth=1
                                        ; =>  This Inner Loop Header: Depth=2
	s_sleep 1
	global_store_dwordx2 v[14:15], v[2:3], off
	v_mov_b32_e32 v0, s14
	v_mov_b32_e32 v1, s15
	buffer_wbl2
	s_waitcnt vmcnt(0)
	global_atomic_cmpswap_x2 v[0:1], v31, v[0:3], s[12:13] offset:32 glc
	s_waitcnt vmcnt(0)
	v_cmp_eq_u64_e32 vcc, v[0:1], v[2:3]
	s_or_b64 s[20:21], vcc, s[20:21]
	v_pk_mov_b32 v[2:3], v[0:1], v[0:1] op_sel:[0,1]
	s_andn2_b64 exec, exec, s[20:21]
	s_cbranch_execnz .LBB0_70
.LBB0_71:                               ;   in Loop: Header=BB0_3 Depth=1
	s_or_b64 exec, exec, s[18:19]
	global_load_dwordx2 v[0:1], v31, s[12:13] offset:16
	s_mov_b64 s[20:21], exec
	v_mbcnt_lo_u32_b32 v2, s20, 0
	v_mbcnt_hi_u32_b32 v2, s21, v2
	v_cmp_eq_u32_e32 vcc, 0, v2
	s_and_saveexec_b64 s[18:19], vcc
	s_cbranch_execz .LBB0_73
; %bb.72:                               ;   in Loop: Header=BB0_3 Depth=1
	s_bcnt1_i32_b64 s20, s[20:21]
	v_mov_b32_e32 v30, s20
	buffer_wbl2
	s_waitcnt vmcnt(0)
	global_atomic_add_x2 v[0:1], v[30:31], off offset:8
.LBB0_73:                               ;   in Loop: Header=BB0_3 Depth=1
	s_or_b64 exec, exec, s[18:19]
	s_waitcnt vmcnt(0)
	global_load_dwordx2 v[2:3], v[0:1], off offset:16
	s_waitcnt vmcnt(0)
	v_cmp_eq_u64_e32 vcc, 0, v[2:3]
	s_cbranch_vccnz .LBB0_75
; %bb.74:                               ;   in Loop: Header=BB0_3 Depth=1
	global_load_dword v30, v[0:1], off offset:24
	s_waitcnt vmcnt(0)
	v_and_b32_e32 v0, 0xffffff, v30
	v_readfirstlane_b32 m0, v0
	buffer_wbl2
	global_store_dwordx2 v[2:3], v[30:31], off
	s_sendmsg sendmsg(MSG_INTERRUPT)
.LBB0_75:                               ;   in Loop: Header=BB0_3 Depth=1
	s_or_b64 exec, exec, s[16:17]
	v_add_co_u32_e32 v0, vcc, v10, v11
	v_addc_co_u32_e32 v1, vcc, 0, v7, vcc
	s_branch .LBB0_79
.LBB0_76:                               ;   in Loop: Header=BB0_79 Depth=2
	s_or_b64 exec, exec, s[16:17]
	v_readfirstlane_b32 s16, v2
	s_cmp_eq_u32 s16, 0
	s_cbranch_scc1 .LBB0_78
; %bb.77:                               ;   in Loop: Header=BB0_79 Depth=2
	s_sleep 1
	s_cbranch_execnz .LBB0_79
	s_branch .LBB0_81
.LBB0_78:                               ;   in Loop: Header=BB0_3 Depth=1
	s_branch .LBB0_81
.LBB0_79:                               ;   Parent Loop BB0_3 Depth=1
                                        ; =>  This Inner Loop Header: Depth=2
	v_mov_b32_e32 v2, 1
	s_and_saveexec_b64 s[16:17], s[4:5]
	s_cbranch_execz .LBB0_76
; %bb.80:                               ;   in Loop: Header=BB0_79 Depth=2
	global_load_dword v2, v[36:37], off offset:20 glc
	s_waitcnt vmcnt(0)
	buffer_invl2
	buffer_wbinvl1_vol
	v_and_b32_e32 v2, 1, v2
	s_branch .LBB0_76
.LBB0_81:                               ;   in Loop: Header=BB0_3 Depth=1
	global_load_dwordx4 v[0:3], v[0:1], off
	s_and_saveexec_b64 s[16:17], s[4:5]
	s_cbranch_execz .LBB0_2
; %bb.82:                               ;   in Loop: Header=BB0_3 Depth=1
	global_load_dwordx2 v[2:3], v31, s[12:13] offset:40
	global_load_dwordx2 v[10:11], v31, s[12:13] offset:24 glc
	global_load_dwordx2 v[18:19], v31, s[12:13]
	v_mov_b32_e32 v7, s15
	s_waitcnt vmcnt(2)
	v_add_co_u32_e32 v17, vcc, 1, v2
	v_addc_co_u32_e32 v20, vcc, 0, v3, vcc
	v_add_co_u32_e32 v14, vcc, s14, v17
	v_addc_co_u32_e32 v15, vcc, v20, v7, vcc
	v_cmp_eq_u64_e32 vcc, 0, v[14:15]
	v_cndmask_b32_e32 v15, v15, v20, vcc
	v_cndmask_b32_e32 v14, v14, v17, vcc
	v_and_b32_e32 v3, v15, v3
	v_and_b32_e32 v2, v14, v2
	v_mul_lo_u32 v3, v3, 24
	v_mul_hi_u32 v7, v2, 24
	v_mul_lo_u32 v2, v2, 24
	v_add_u32_e32 v3, v7, v3
	s_waitcnt vmcnt(0)
	v_add_co_u32_e32 v2, vcc, v18, v2
	v_addc_co_u32_e32 v3, vcc, v19, v3, vcc
	v_mov_b32_e32 v16, v10
	global_store_dwordx2 v[2:3], v[10:11], off
	v_mov_b32_e32 v17, v11
	buffer_wbl2
	s_waitcnt vmcnt(0)
	global_atomic_cmpswap_x2 v[16:17], v31, v[14:17], s[12:13] offset:24 glc
	s_waitcnt vmcnt(0)
	v_cmp_ne_u64_e32 vcc, v[16:17], v[10:11]
	s_and_b64 exec, exec, vcc
	s_cbranch_execz .LBB0_2
; %bb.83:                               ;   in Loop: Header=BB0_3 Depth=1
	s_mov_b64 s[4:5], 0
.LBB0_84:                               ;   Parent Loop BB0_3 Depth=1
                                        ; =>  This Inner Loop Header: Depth=2
	s_sleep 1
	global_store_dwordx2 v[2:3], v[16:17], off
	buffer_wbl2
	s_waitcnt vmcnt(0)
	global_atomic_cmpswap_x2 v[10:11], v31, v[14:17], s[12:13] offset:24 glc
	s_waitcnt vmcnt(0)
	v_cmp_eq_u64_e32 vcc, v[10:11], v[16:17]
	s_or_b64 s[4:5], vcc, s[4:5]
	v_pk_mov_b32 v[16:17], v[10:11], v[10:11] op_sel:[0,1]
	s_andn2_b64 exec, exec, s[4:5]
	s_cbranch_execnz .LBB0_84
	s_branch .LBB0_2
.LBB0_85:
	s_or_b64 exec, exec, s[6:7]
                                        ; implicit-def: $vgpr0
                                        ; implicit-def: $vgpr1
                                        ; implicit-def: $vgpr2
.LBB0_86:
	s_andn2_saveexec_b64 s[6:7], s[10:11]
	s_cbranch_execz .LBB0_109
; %bb.87:
	s_load_dwordx2 s[8:9], s[8:9], 0x50
	s_waitcnt vmcnt(0)
	v_mbcnt_hi_u32_b32 v3, -1, v2
	v_readfirstlane_b32 s4, v3
	v_cmp_eq_u32_e64 s[4:5], s4, v3
	v_pk_mov_b32 v[8:9], 0, 0
	s_and_saveexec_b64 s[10:11], s[4:5]
	s_cbranch_execz .LBB0_93
; %bb.88:
	v_mov_b32_e32 v2, 0
	s_waitcnt lgkmcnt(0)
	global_load_dwordx2 v[6:7], v2, s[8:9] offset:24 glc
	s_waitcnt vmcnt(0)
	buffer_invl2
	buffer_wbinvl1_vol
	global_load_dwordx2 v[4:5], v2, s[8:9] offset:40
	global_load_dwordx2 v[8:9], v2, s[8:9]
	s_waitcnt vmcnt(1)
	v_and_b32_e32 v4, v4, v6
	v_and_b32_e32 v5, v5, v7
	v_mul_lo_u32 v5, v5, 24
	v_mul_hi_u32 v10, v4, 24
	v_mul_lo_u32 v4, v4, 24
	v_add_u32_e32 v5, v10, v5
	s_waitcnt vmcnt(0)
	v_add_co_u32_e32 v4, vcc, v8, v4
	v_addc_co_u32_e32 v5, vcc, v9, v5, vcc
	global_load_dwordx2 v[4:5], v[4:5], off glc
	s_waitcnt vmcnt(0)
	global_atomic_cmpswap_x2 v[8:9], v2, v[4:7], s[8:9] offset:24 glc
	s_waitcnt vmcnt(0)
	buffer_invl2
	buffer_wbinvl1_vol
	v_cmp_ne_u64_e32 vcc, v[8:9], v[6:7]
	s_and_saveexec_b64 s[12:13], vcc
	s_cbranch_execz .LBB0_92
; %bb.89:
	s_mov_b64 s[14:15], 0
.LBB0_90:                               ; =>This Inner Loop Header: Depth=1
	s_sleep 1
	global_load_dwordx2 v[4:5], v2, s[8:9] offset:40
	global_load_dwordx2 v[10:11], v2, s[8:9]
	v_pk_mov_b32 v[6:7], v[8:9], v[8:9] op_sel:[0,1]
	s_waitcnt vmcnt(1)
	v_and_b32_e32 v4, v4, v6
	v_and_b32_e32 v9, v5, v7
	s_waitcnt vmcnt(0)
	v_mad_u64_u32 v[4:5], s[16:17], v4, 24, v[10:11]
	v_mov_b32_e32 v8, v5
	v_mad_u64_u32 v[8:9], s[16:17], v9, 24, v[8:9]
	v_mov_b32_e32 v5, v8
	global_load_dwordx2 v[4:5], v[4:5], off glc
	s_waitcnt vmcnt(0)
	global_atomic_cmpswap_x2 v[8:9], v2, v[4:7], s[8:9] offset:24 glc
	s_waitcnt vmcnt(0)
	buffer_invl2
	buffer_wbinvl1_vol
	v_cmp_eq_u64_e32 vcc, v[8:9], v[6:7]
	s_or_b64 s[14:15], vcc, s[14:15]
	s_andn2_b64 exec, exec, s[14:15]
	s_cbranch_execnz .LBB0_90
; %bb.91:
	s_or_b64 exec, exec, s[14:15]
.LBB0_92:
	s_or_b64 exec, exec, s[12:13]
.LBB0_93:
	s_or_b64 exec, exec, s[10:11]
	v_mov_b32_e32 v2, 0
	s_waitcnt lgkmcnt(0)
	global_load_dwordx2 v[10:11], v2, s[8:9] offset:40
	global_load_dwordx4 v[4:7], v2, s[8:9]
	v_readfirstlane_b32 s10, v8
	v_readfirstlane_b32 s11, v9
	s_mov_b64 s[12:13], exec
	s_waitcnt vmcnt(1)
	v_readfirstlane_b32 s14, v10
	v_readfirstlane_b32 s15, v11
	s_and_b64 s[14:15], s[10:11], s[14:15]
	s_mul_i32 s16, s15, 24
	s_mul_hi_u32 s17, s14, 24
	s_mul_i32 s18, s14, 24
	s_add_i32 s16, s17, s16
	v_mov_b32_e32 v9, s16
	s_waitcnt vmcnt(0)
	v_add_co_u32_e32 v8, vcc, s18, v4
	v_addc_co_u32_e32 v9, vcc, v5, v9, vcc
	s_and_saveexec_b64 s[16:17], s[4:5]
	s_cbranch_execz .LBB0_95
; %bb.94:
	v_pk_mov_b32 v[10:11], s[12:13], s[12:13] op_sel:[0,1]
	v_mov_b32_e32 v12, 2
	v_mov_b32_e32 v13, 1
	global_store_dwordx4 v[8:9], v[10:13], off offset:8
.LBB0_95:
	s_or_b64 exec, exec, s[16:17]
	s_lshl_b64 s[12:13], s[14:15], 12
	v_mov_b32_e32 v10, s13
	v_add_co_u32_e32 v6, vcc, s12, v6
	s_movk_i32 s12, 0xff1f
	v_addc_co_u32_e32 v7, vcc, v7, v10, vcc
	v_and_or_b32 v0, v0, s12, 32
	s_mov_b32 s12, 0
	v_lshlrev_b32_e32 v10, 6, v3
	v_mov_b32_e32 v3, v2
	v_readfirstlane_b32 s16, v6
	v_readfirstlane_b32 s17, v7
	s_mov_b32 s13, s12
	s_mov_b32 s14, s12
	;; [unrolled: 1-line block ×3, first 2 shown]
	s_nop 1
	global_store_dwordx4 v10, v[0:3], s[16:17]
	s_nop 0
	v_pk_mov_b32 v[0:1], s[12:13], s[12:13] op_sel:[0,1]
	v_pk_mov_b32 v[2:3], s[14:15], s[14:15] op_sel:[0,1]
	global_store_dwordx4 v10, v[0:3], s[16:17] offset:16
	global_store_dwordx4 v10, v[0:3], s[16:17] offset:32
	;; [unrolled: 1-line block ×3, first 2 shown]
	s_and_saveexec_b64 s[12:13], s[4:5]
	s_cbranch_execz .LBB0_103
; %bb.96:
	v_mov_b32_e32 v6, 0
	global_load_dwordx2 v[12:13], v6, s[8:9] offset:32 glc
	global_load_dwordx2 v[0:1], v6, s[8:9] offset:40
	v_mov_b32_e32 v10, s10
	v_mov_b32_e32 v11, s11
	s_waitcnt vmcnt(0)
	v_and_b32_e32 v0, s10, v0
	v_and_b32_e32 v1, s11, v1
	v_mul_lo_u32 v1, v1, 24
	v_mul_hi_u32 v2, v0, 24
	v_mul_lo_u32 v0, v0, 24
	v_add_u32_e32 v1, v2, v1
	v_add_co_u32_e32 v4, vcc, v4, v0
	v_addc_co_u32_e32 v5, vcc, v5, v1, vcc
	global_store_dwordx2 v[4:5], v[12:13], off
	buffer_wbl2
	s_waitcnt vmcnt(0)
	global_atomic_cmpswap_x2 v[2:3], v6, v[10:13], s[8:9] offset:32 glc
	s_waitcnt vmcnt(0)
	v_cmp_ne_u64_e32 vcc, v[2:3], v[12:13]
	s_and_saveexec_b64 s[14:15], vcc
	s_cbranch_execz .LBB0_99
; %bb.97:
	s_mov_b64 s[16:17], 0
.LBB0_98:                               ; =>This Inner Loop Header: Depth=1
	s_sleep 1
	global_store_dwordx2 v[4:5], v[2:3], off
	v_mov_b32_e32 v0, s10
	v_mov_b32_e32 v1, s11
	buffer_wbl2
	s_waitcnt vmcnt(0)
	global_atomic_cmpswap_x2 v[0:1], v6, v[0:3], s[8:9] offset:32 glc
	s_waitcnt vmcnt(0)
	v_cmp_eq_u64_e32 vcc, v[0:1], v[2:3]
	s_or_b64 s[16:17], vcc, s[16:17]
	v_pk_mov_b32 v[2:3], v[0:1], v[0:1] op_sel:[0,1]
	s_andn2_b64 exec, exec, s[16:17]
	s_cbranch_execnz .LBB0_98
.LBB0_99:
	s_or_b64 exec, exec, s[14:15]
	v_mov_b32_e32 v3, 0
	global_load_dwordx2 v[0:1], v3, s[8:9] offset:16
	s_mov_b64 s[14:15], exec
	v_mbcnt_lo_u32_b32 v2, s14, 0
	v_mbcnt_hi_u32_b32 v2, s15, v2
	v_cmp_eq_u32_e32 vcc, 0, v2
	s_and_saveexec_b64 s[16:17], vcc
	s_cbranch_execz .LBB0_101
; %bb.100:
	s_bcnt1_i32_b64 s14, s[14:15]
	v_mov_b32_e32 v2, s14
	buffer_wbl2
	s_waitcnt vmcnt(0)
	global_atomic_add_x2 v[0:1], v[2:3], off offset:8
.LBB0_101:
	s_or_b64 exec, exec, s[16:17]
	s_waitcnt vmcnt(0)
	global_load_dwordx2 v[2:3], v[0:1], off offset:16
	s_waitcnt vmcnt(0)
	v_cmp_eq_u64_e32 vcc, 0, v[2:3]
	s_cbranch_vccnz .LBB0_103
; %bb.102:
	global_load_dword v0, v[0:1], off offset:24
	v_mov_b32_e32 v1, 0
	buffer_wbl2
	s_waitcnt vmcnt(0)
	global_store_dwordx2 v[2:3], v[0:1], off
	v_and_b32_e32 v0, 0xffffff, v0
	v_readfirstlane_b32 m0, v0
	s_sendmsg sendmsg(MSG_INTERRUPT)
.LBB0_103:
	s_or_b64 exec, exec, s[12:13]
	s_branch .LBB0_107
.LBB0_104:                              ;   in Loop: Header=BB0_107 Depth=1
	s_or_b64 exec, exec, s[12:13]
	v_readfirstlane_b32 s12, v0
	s_cmp_eq_u32 s12, 0
	s_cbranch_scc1 .LBB0_106
; %bb.105:                              ;   in Loop: Header=BB0_107 Depth=1
	s_sleep 1
	s_cbranch_execnz .LBB0_107
	s_branch .LBB0_110
.LBB0_106:
	s_branch .LBB0_110
.LBB0_107:                              ; =>This Inner Loop Header: Depth=1
	v_mov_b32_e32 v0, 1
	s_and_saveexec_b64 s[12:13], s[4:5]
	s_cbranch_execz .LBB0_104
; %bb.108:                              ;   in Loop: Header=BB0_107 Depth=1
	global_load_dword v0, v[8:9], off offset:20 glc
	s_waitcnt vmcnt(0)
	buffer_invl2
	buffer_wbinvl1_vol
	v_and_b32_e32 v0, 1, v0
	s_branch .LBB0_104
.LBB0_109:
	s_or_b64 exec, exec, s[6:7]
	s_waitcnt vmcnt(0) lgkmcnt(0)
	s_setpc_b64 s[30:31]
.LBB0_110:
	s_and_saveexec_b64 s[12:13], s[4:5]
	s_cbranch_execz .LBB0_113
; %bb.111:
	v_mov_b32_e32 v6, 0
	global_load_dwordx2 v[4:5], v6, s[8:9] offset:40
	global_load_dwordx2 v[8:9], v6, s[8:9] offset:24 glc
	global_load_dwordx2 v[10:11], v6, s[8:9]
	v_mov_b32_e32 v1, s11
	s_mov_b64 s[4:5], 0
	s_waitcnt vmcnt(2)
	v_add_co_u32_e32 v3, vcc, 1, v4
	v_addc_co_u32_e32 v7, vcc, 0, v5, vcc
	v_add_co_u32_e32 v0, vcc, s10, v3
	v_addc_co_u32_e32 v1, vcc, v7, v1, vcc
	v_cmp_eq_u64_e32 vcc, 0, v[0:1]
	v_cndmask_b32_e32 v1, v1, v7, vcc
	v_cndmask_b32_e32 v0, v0, v3, vcc
	v_and_b32_e32 v3, v1, v5
	v_and_b32_e32 v4, v0, v4
	v_mul_lo_u32 v3, v3, 24
	v_mul_hi_u32 v5, v4, 24
	v_mul_lo_u32 v4, v4, 24
	v_add_u32_e32 v3, v5, v3
	s_waitcnt vmcnt(0)
	v_add_co_u32_e32 v4, vcc, v10, v4
	v_addc_co_u32_e32 v5, vcc, v11, v3, vcc
	v_mov_b32_e32 v2, v8
	global_store_dwordx2 v[4:5], v[8:9], off
	v_mov_b32_e32 v3, v9
	buffer_wbl2
	s_waitcnt vmcnt(0)
	global_atomic_cmpswap_x2 v[2:3], v6, v[0:3], s[8:9] offset:24 glc
	s_waitcnt vmcnt(0)
	v_cmp_ne_u64_e32 vcc, v[2:3], v[8:9]
	s_and_b64 exec, exec, vcc
	s_cbranch_execz .LBB0_113
.LBB0_112:                              ; =>This Inner Loop Header: Depth=1
	s_sleep 1
	global_store_dwordx2 v[4:5], v[2:3], off
	buffer_wbl2
	s_waitcnt vmcnt(0)
	global_atomic_cmpswap_x2 v[8:9], v6, v[0:3], s[8:9] offset:24 glc
	s_waitcnt vmcnt(0)
	v_cmp_eq_u64_e32 vcc, v[8:9], v[2:3]
	s_or_b64 s[4:5], vcc, s[4:5]
	v_pk_mov_b32 v[2:3], v[8:9], v[8:9] op_sel:[0,1]
	s_andn2_b64 exec, exec, s[4:5]
	s_cbranch_execnz .LBB0_112
.LBB0_113:
	s_or_b64 exec, exec, s[12:13]
	s_or_b64 exec, exec, s[6:7]
	s_waitcnt vmcnt(0) lgkmcnt(0)
	s_setpc_b64 s[30:31]
.Lfunc_end0:
	.size	__ockl_fprintf_append_string_n, .Lfunc_end0-__ockl_fprintf_append_string_n
                                        ; -- End function
	.section	.AMDGPU.csdata,"",@progbits
; Function info:
; codeLenInByte = 4372
; NumSgprs: 36
; NumVgprs: 38
; NumAgprs: 0
; TotalNumVgprs: 38
; ScratchSize: 0
; MemoryBound: 0
	.text
	.p2align	2                               ; -- Begin function __assert_fail
	.type	__assert_fail,@function
__assert_fail:                          ; @__assert_fail
; %bb.0:
	s_waitcnt vmcnt(0) expcnt(0) lgkmcnt(0)
	s_mov_b32 s25, s33
	s_mov_b32 s33, s32
	s_or_saveexec_b64 s[4:5], -1
	buffer_store_dword v40, off, s[0:3], s33 offset:48 ; 4-byte Folded Spill
	s_mov_b64 exec, s[4:5]
	v_writelane_b32 v40, s30, 0
	s_addk_i32 s32, 0x1000
	v_writelane_b32 v40, s31, 1
	s_getpc_b64 s[4:5]
	s_add_u32 s4, s4, __const.__assert_fail.fmt@rel32@lo+4
	s_addc_u32 s5, s5, __const.__assert_fail.fmt@rel32@hi+12
	s_load_dwordx4 s[4:7], s[4:5], 0x0
	v_mov_b32_e32 v4, v0
	v_mov_b32_e32 v0, 0xa2e
	buffer_store_short v0, off, s[0:3], s33 offset:44
	v_mov_b32_e32 v0, 0x64656c69
	buffer_store_dword v0, off, s[0:3], s33 offset:40
	v_mov_b32_e32 v0, 0x61662027
	s_getpc_b64 s[10:11]
	s_add_u32 s10, s10, __const.__assert_fail.fmt@rel32@lo+20
	s_addc_u32 s11, s11, __const.__assert_fail.fmt@rel32@hi+28
	buffer_store_dword v0, off, s[0:3], s33 offset:36
	v_mov_b32_e32 v0, 0x73256020
	s_load_dwordx4 s[12:15], s[10:11], 0x0
	buffer_store_dword v0, off, s[0:3], s33 offset:32
	s_waitcnt lgkmcnt(0)
	v_mov_b32_e32 v0, s7
	buffer_store_dword v0, off, s[0:3], s33 offset:12
	v_mov_b32_e32 v0, s6
	buffer_store_dword v0, off, s[0:3], s33 offset:8
	v_mov_b32_e32 v0, s5
	buffer_store_dword v0, off, s[0:3], s33 offset:4
	v_mov_b32_e32 v0, s4
	buffer_store_dword v0, off, s[0:3], s33
	v_mov_b32_e32 v0, s15
	buffer_store_dword v0, off, s[0:3], s33 offset:28
	v_mov_b32_e32 v0, s14
	buffer_store_dword v0, off, s[0:3], s33 offset:24
	;; [unrolled: 2-line block ×3, first 2 shown]
	v_mov_b32_e32 v0, s12
	s_load_dwordx2 s[10:11], s[8:9], 0x50
	buffer_store_dword v0, off, s[0:3], s33 offset:16
	v_mbcnt_lo_u32_b32 v0, -1, 0
	v_mbcnt_hi_u32_b32 v37, -1, v0
	v_readfirstlane_b32 s4, v37
	v_mov_b32_e32 v5, v1
	v_mov_b32_e32 v8, 0
	v_cmp_eq_u32_e64 s[4:5], s4, v37
	v_pk_mov_b32 v[6:7], 0, 0
	buffer_store_byte v8, off, s[0:3], s33 offset:46
	s_and_saveexec_b64 s[6:7], s[4:5]
	s_cbranch_execz .LBB1_6
; %bb.1:
	s_waitcnt lgkmcnt(0)
	global_load_dwordx2 v[2:3], v8, s[10:11] offset:24 glc
	s_waitcnt vmcnt(0)
	buffer_invl2
	buffer_wbinvl1_vol
	global_load_dwordx2 v[0:1], v8, s[10:11] offset:40
	global_load_dwordx2 v[6:7], v8, s[10:11]
	s_waitcnt vmcnt(1)
	v_and_b32_e32 v0, v0, v2
	v_and_b32_e32 v1, v1, v3
	v_mul_lo_u32 v1, v1, 24
	v_mul_hi_u32 v9, v0, 24
	v_mul_lo_u32 v0, v0, 24
	v_add_u32_e32 v1, v9, v1
	s_waitcnt vmcnt(0)
	v_add_co_u32_e32 v0, vcc, v6, v0
	v_addc_co_u32_e32 v1, vcc, v7, v1, vcc
	global_load_dwordx2 v[0:1], v[0:1], off glc
	s_waitcnt vmcnt(0)
	global_atomic_cmpswap_x2 v[6:7], v8, v[0:3], s[10:11] offset:24 glc
	s_waitcnt vmcnt(0)
	buffer_invl2
	buffer_wbinvl1_vol
	v_cmp_ne_u64_e32 vcc, v[6:7], v[2:3]
	s_and_saveexec_b64 s[12:13], vcc
	s_cbranch_execz .LBB1_5
; %bb.2:
	s_mov_b64 s[14:15], 0
.LBB1_3:                                ; =>This Inner Loop Header: Depth=1
	s_sleep 1
	global_load_dwordx2 v[0:1], v8, s[10:11] offset:40
	global_load_dwordx2 v[10:11], v8, s[10:11]
	v_pk_mov_b32 v[2:3], v[6:7], v[6:7] op_sel:[0,1]
	s_waitcnt vmcnt(1)
	v_and_b32_e32 v0, v0, v2
	v_and_b32_e32 v7, v1, v3
	s_waitcnt vmcnt(0)
	v_mad_u64_u32 v[0:1], s[16:17], v0, 24, v[10:11]
	v_mov_b32_e32 v6, v1
	v_mad_u64_u32 v[6:7], s[16:17], v7, 24, v[6:7]
	v_mov_b32_e32 v1, v6
	global_load_dwordx2 v[0:1], v[0:1], off glc
	s_waitcnt vmcnt(0)
	global_atomic_cmpswap_x2 v[6:7], v8, v[0:3], s[10:11] offset:24 glc
	s_waitcnt vmcnt(0)
	buffer_invl2
	buffer_wbinvl1_vol
	v_cmp_eq_u64_e32 vcc, v[6:7], v[2:3]
	s_or_b64 s[14:15], vcc, s[14:15]
	s_andn2_b64 exec, exec, s[14:15]
	s_cbranch_execnz .LBB1_3
; %bb.4:
	s_or_b64 exec, exec, s[14:15]
.LBB1_5:
	s_or_b64 exec, exec, s[12:13]
.LBB1_6:
	s_or_b64 exec, exec, s[6:7]
	s_waitcnt lgkmcnt(0)
	global_load_dwordx2 v[10:11], v8, s[10:11] offset:40
	global_load_dwordx4 v[0:3], v8, s[10:11]
	v_readfirstlane_b32 s6, v6
	v_readfirstlane_b32 s7, v7
	s_mov_b64 s[12:13], exec
	s_waitcnt vmcnt(1)
	v_readfirstlane_b32 s14, v10
	v_readfirstlane_b32 s15, v11
	s_and_b64 s[14:15], s[6:7], s[14:15]
	s_mul_i32 s16, s15, 24
	s_mul_hi_u32 s17, s14, 24
	s_mul_i32 s18, s14, 24
	s_add_i32 s16, s17, s16
	v_mov_b32_e32 v6, s16
	s_waitcnt vmcnt(0)
	v_add_co_u32_e32 v10, vcc, s18, v0
	v_addc_co_u32_e32 v11, vcc, v1, v6, vcc
	s_and_saveexec_b64 s[16:17], s[4:5]
	s_cbranch_execz .LBB1_8
; %bb.7:
	v_pk_mov_b32 v[6:7], s[12:13], s[12:13] op_sel:[0,1]
	v_mov_b32_e32 v8, 2
	v_mov_b32_e32 v9, 1
	global_store_dwordx4 v[10:11], v[6:9], off offset:8
.LBB1_8:
	s_or_b64 exec, exec, s[16:17]
	s_lshl_b64 s[12:13], s[14:15], 12
	v_mov_b32_e32 v6, s13
	v_add_co_u32_e32 v2, vcc, s12, v2
	s_mov_b32 s12, 0
	v_addc_co_u32_e32 v3, vcc, v3, v6, vcc
	v_lshlrev_b32_e32 v36, 6, v37
	s_mov_b32 s14, s12
	s_mov_b32 s15, s12
	v_mov_b32_e32 v7, 0
	v_add_co_u32_e32 v12, vcc, v2, v36
	s_mov_b32 s13, s12
	v_pk_mov_b32 v[16:17], s[14:15], s[14:15] op_sel:[0,1]
	v_addc_co_u32_e32 v13, vcc, 0, v3, vcc
	v_mov_b32_e32 v6, 33
	v_mov_b32_e32 v8, 1
	;; [unrolled: 1-line block ×3, first 2 shown]
	v_readfirstlane_b32 s16, v2
	v_readfirstlane_b32 s17, v3
	v_pk_mov_b32 v[14:15], s[12:13], s[12:13] op_sel:[0,1]
	s_nop 3
	global_store_dwordx4 v36, v[6:9], s[16:17]
	global_store_dwordx4 v36, v[14:17], s[16:17] offset:16
	global_store_dwordx4 v36, v[14:17], s[16:17] offset:32
	global_store_dwordx4 v36, v[14:17], s[16:17] offset:48
	s_and_saveexec_b64 s[12:13], s[4:5]
	s_cbranch_execz .LBB1_16
; %bb.9:
	global_load_dwordx2 v[16:17], v7, s[10:11] offset:32 glc
	global_load_dwordx2 v[2:3], v7, s[10:11] offset:40
	v_mov_b32_e32 v14, s6
	v_mov_b32_e32 v15, s7
	s_waitcnt vmcnt(0)
	v_and_b32_e32 v2, s6, v2
	v_and_b32_e32 v3, s7, v3
	v_mul_lo_u32 v3, v3, 24
	v_mul_hi_u32 v6, v2, 24
	v_mul_lo_u32 v2, v2, 24
	v_add_u32_e32 v3, v6, v3
	v_add_co_u32_e32 v8, vcc, v0, v2
	v_addc_co_u32_e32 v9, vcc, v1, v3, vcc
	global_store_dwordx2 v[8:9], v[16:17], off
	buffer_wbl2
	s_waitcnt vmcnt(0)
	global_atomic_cmpswap_x2 v[2:3], v7, v[14:17], s[10:11] offset:32 glc
	s_waitcnt vmcnt(0)
	v_cmp_ne_u64_e32 vcc, v[2:3], v[16:17]
	s_and_saveexec_b64 s[14:15], vcc
	s_cbranch_execz .LBB1_12
; %bb.10:
	s_mov_b64 s[16:17], 0
.LBB1_11:                               ; =>This Inner Loop Header: Depth=1
	s_sleep 1
	global_store_dwordx2 v[8:9], v[2:3], off
	v_mov_b32_e32 v0, s6
	v_mov_b32_e32 v1, s7
	buffer_wbl2
	s_waitcnt vmcnt(0)
	global_atomic_cmpswap_x2 v[0:1], v7, v[0:3], s[10:11] offset:32 glc
	s_waitcnt vmcnt(0)
	v_cmp_eq_u64_e32 vcc, v[0:1], v[2:3]
	s_or_b64 s[16:17], vcc, s[16:17]
	v_pk_mov_b32 v[2:3], v[0:1], v[0:1] op_sel:[0,1]
	s_andn2_b64 exec, exec, s[16:17]
	s_cbranch_execnz .LBB1_11
.LBB1_12:
	s_or_b64 exec, exec, s[14:15]
	v_mov_b32_e32 v3, 0
	global_load_dwordx2 v[0:1], v3, s[10:11] offset:16
	s_mov_b64 s[14:15], exec
	v_mbcnt_lo_u32_b32 v2, s14, 0
	v_mbcnt_hi_u32_b32 v2, s15, v2
	v_cmp_eq_u32_e32 vcc, 0, v2
	s_and_saveexec_b64 s[16:17], vcc
	s_cbranch_execz .LBB1_14
; %bb.13:
	s_bcnt1_i32_b64 s14, s[14:15]
	v_mov_b32_e32 v2, s14
	buffer_wbl2
	s_waitcnt vmcnt(0)
	global_atomic_add_x2 v[0:1], v[2:3], off offset:8
.LBB1_14:
	s_or_b64 exec, exec, s[16:17]
	s_waitcnt vmcnt(0)
	global_load_dwordx2 v[2:3], v[0:1], off offset:16
	s_waitcnt vmcnt(0)
	v_cmp_eq_u64_e32 vcc, 0, v[2:3]
	s_cbranch_vccnz .LBB1_16
; %bb.15:
	global_load_dword v0, v[0:1], off offset:24
	v_mov_b32_e32 v1, 0
	buffer_wbl2
	s_waitcnt vmcnt(0)
	global_store_dwordx2 v[2:3], v[0:1], off
	v_and_b32_e32 v0, 0xffffff, v0
	v_readfirstlane_b32 m0, v0
	s_sendmsg sendmsg(MSG_INTERRUPT)
.LBB1_16:
	s_or_b64 exec, exec, s[12:13]
	s_branch .LBB1_20
.LBB1_17:                               ;   in Loop: Header=BB1_20 Depth=1
	s_or_b64 exec, exec, s[12:13]
	v_readfirstlane_b32 s12, v0
	s_cmp_eq_u32 s12, 0
	s_cbranch_scc1 .LBB1_19
; %bb.18:                               ;   in Loop: Header=BB1_20 Depth=1
	s_sleep 1
	s_cbranch_execnz .LBB1_20
	s_branch .LBB1_22
.LBB1_19:
	s_branch .LBB1_22
.LBB1_20:                               ; =>This Inner Loop Header: Depth=1
	v_mov_b32_e32 v0, 1
	s_and_saveexec_b64 s[12:13], s[4:5]
	s_cbranch_execz .LBB1_17
; %bb.21:                               ;   in Loop: Header=BB1_20 Depth=1
	global_load_dword v0, v[10:11], off offset:20 glc
	s_waitcnt vmcnt(0)
	buffer_invl2
	buffer_wbinvl1_vol
	v_and_b32_e32 v0, 1, v0
	s_branch .LBB1_17
.LBB1_22:
	global_load_dwordx2 v[6:7], v[12:13], off
	s_and_saveexec_b64 s[12:13], s[4:5]
	s_cbranch_execz .LBB1_25
; %bb.23:
	v_mov_b32_e32 v10, 0
	global_load_dwordx2 v[8:9], v10, s[10:11] offset:40
	global_load_dwordx2 v[12:13], v10, s[10:11] offset:24 glc
	global_load_dwordx2 v[14:15], v10, s[10:11]
	v_mov_b32_e32 v1, s7
	s_mov_b64 s[4:5], 0
	s_waitcnt vmcnt(2)
	v_add_co_u32_e32 v3, vcc, 1, v8
	v_addc_co_u32_e32 v11, vcc, 0, v9, vcc
	v_add_co_u32_e32 v0, vcc, s6, v3
	v_addc_co_u32_e32 v1, vcc, v11, v1, vcc
	v_cmp_eq_u64_e32 vcc, 0, v[0:1]
	v_cndmask_b32_e32 v1, v1, v11, vcc
	v_cndmask_b32_e32 v0, v0, v3, vcc
	v_and_b32_e32 v3, v1, v9
	v_and_b32_e32 v8, v0, v8
	v_mul_lo_u32 v3, v3, 24
	v_mul_hi_u32 v9, v8, 24
	v_mul_lo_u32 v8, v8, 24
	v_add_u32_e32 v3, v9, v3
	s_waitcnt vmcnt(0)
	v_add_co_u32_e32 v8, vcc, v14, v8
	v_addc_co_u32_e32 v9, vcc, v15, v3, vcc
	v_mov_b32_e32 v2, v12
	global_store_dwordx2 v[8:9], v[12:13], off
	v_mov_b32_e32 v3, v13
	buffer_wbl2
	s_waitcnt vmcnt(0)
	global_atomic_cmpswap_x2 v[2:3], v10, v[0:3], s[10:11] offset:24 glc
	s_waitcnt vmcnt(0)
	v_cmp_ne_u64_e32 vcc, v[2:3], v[12:13]
	s_and_b64 exec, exec, vcc
	s_cbranch_execz .LBB1_25
.LBB1_24:                               ; =>This Inner Loop Header: Depth=1
	s_sleep 1
	global_store_dwordx2 v[8:9], v[2:3], off
	buffer_wbl2
	s_waitcnt vmcnt(0)
	global_atomic_cmpswap_x2 v[12:13], v10, v[0:3], s[10:11] offset:24 glc
	s_waitcnt vmcnt(0)
	v_cmp_eq_u64_e32 vcc, v[12:13], v[2:3]
	s_or_b64 s[4:5], vcc, s[4:5]
	v_pk_mov_b32 v[2:3], v[12:13], v[12:13] op_sel:[0,1]
	s_andn2_b64 exec, exec, s[4:5]
	s_cbranch_execnz .LBB1_24
.LBB1_25:
	s_or_b64 exec, exec, s[12:13]
	v_lshrrev_b32_e64 v1, 6, s33
	s_mov_b64 s[4:5], 0
.LBB1_26:                               ; =>This Inner Loop Header: Depth=1
	buffer_load_ubyte v2, v1, s[0:3], 0 offen
	v_add_u32_e32 v0, 1, v1
	v_mov_b32_e32 v1, v0
	s_waitcnt vmcnt(0)
	v_cmp_eq_u16_e32 vcc, 0, v2
	s_or_b64 s[4:5], vcc, s[4:5]
	s_andn2_b64 exec, exec, s[4:5]
	s_cbranch_execnz .LBB1_26
; %bb.27:
	s_or_b64 exec, exec, s[4:5]
	v_lshrrev_b32_e64 v31, 6, s33
	v_cmp_ne_u32_e32 vcc, -1, v31
	s_cbranch_vccz .LBB1_112
; %bb.28:
	v_lshrrev_b32_e64 v1, 6, s33
	v_subrev_u32_e32 v28, v1, v0
	v_ashrrev_i32_e32 v29, 31, v28
	v_and_b32_e32 v30, 2, v6
	v_mov_b32_e32 v33, 0
	v_and_b32_e32 v0, -3, v6
	v_mov_b32_e32 v1, v7
	s_mov_b64 s[12:13], 0
	s_mov_b32 s20, 0
	s_movk_i32 s21, 0xff1f
	v_mov_b32_e32 v10, 2
	v_mov_b32_e32 v11, 1
	s_branch .LBB1_30
.LBB1_29:                               ;   in Loop: Header=BB1_30 Depth=1
	s_or_b64 exec, exec, s[6:7]
	v_sub_co_u32_e32 v28, vcc, v28, v38
	v_subb_co_u32_e32 v29, vcc, v29, v39, vcc
	v_cmp_eq_u64_e32 vcc, 0, v[28:29]
	s_or_b64 s[12:13], vcc, s[12:13]
	v_add_u32_e32 v31, v31, v38
	s_andn2_b64 exec, exec, s[12:13]
	s_cbranch_execz .LBB1_113
.LBB1_30:                               ; =>This Loop Header: Depth=1
                                        ;     Child Loop BB1_33 Depth 2
                                        ;     Child Loop BB1_41 Depth 2
	;; [unrolled: 1-line block ×11, first 2 shown]
	v_cmp_gt_u64_e32 vcc, 56, v[28:29]
	v_cndmask_b32_e32 v38, 56, v28, vcc
	v_cmp_gt_u64_e64 s[4:5], 8, v[28:29]
                                        ; implicit-def: $vgpr2_vgpr3
                                        ; implicit-def: $sgpr14
	s_and_saveexec_b64 s[6:7], s[4:5]
	s_xor_b64 s[6:7], exec, s[6:7]
	s_cbranch_execz .LBB1_36
; %bb.31:                               ;   in Loop: Header=BB1_30 Depth=1
	s_mov_b64 s[16:17], 0
	v_cmp_ne_u64_e64 s[4:5], 0, v[28:29]
	s_waitcnt vmcnt(0)
	v_pk_mov_b32 v[2:3], 0, 0
	s_and_saveexec_b64 s[14:15], s[4:5]
	s_cbranch_execz .LBB1_35
; %bb.32:                               ;   in Loop: Header=BB1_30 Depth=1
	s_mov_b32 s22, 0
	v_pk_mov_b32 v[2:3], 0, 0
	s_mov_b64 s[18:19], 0
.LBB1_33:                               ;   Parent Loop BB1_30 Depth=1
                                        ; =>  This Inner Loop Header: Depth=2
	v_add_u32_e32 v8, s22, v31
	buffer_load_ubyte v8, v8, s[0:3], 0 offen
	v_mov_b32_e32 v9, s20
	s_add_i32 s22, s22, 1
	v_cmp_eq_u32_e64 s[4:5], s22, v38
	s_waitcnt vmcnt(0)
	v_and_b32_e32 v8, 0xffff, v8
	v_lshlrev_b64 v[8:9], s18, v[8:9]
	s_add_u32 s18, s18, 8
	s_addc_u32 s19, s19, 0
	v_or_b32_e32 v3, v9, v3
	s_or_b64 s[16:17], s[4:5], s[16:17]
	v_or_b32_e32 v2, v8, v2
	s_andn2_b64 exec, exec, s[16:17]
	s_cbranch_execnz .LBB1_33
; %bb.34:                               ;   in Loop: Header=BB1_30 Depth=1
	s_or_b64 exec, exec, s[16:17]
.LBB1_35:                               ;   in Loop: Header=BB1_30 Depth=1
	s_or_b64 exec, exec, s[14:15]
	s_mov_b32 s14, 0
.LBB1_36:                               ;   in Loop: Header=BB1_30 Depth=1
	s_or_saveexec_b64 s[4:5], s[6:7]
	v_mov_b32_e32 v9, s14
	v_mov_b32_e32 v8, v31
	s_xor_b64 exec, exec, s[4:5]
	s_cbranch_execz .LBB1_38
; %bb.37:                               ;   in Loop: Header=BB1_30 Depth=1
	buffer_load_dword v2, v31, s[0:3], 0 offen offset:4
	buffer_load_dword v3, v31, s[0:3], 0 offen
	v_add_u32_e32 v9, -8, v38
	s_waitcnt vmcnt(1)
	v_and_b32_e32 v8, 0xff, v2
	v_and_b32_e32 v12, 0xff00, v2
	s_waitcnt vmcnt(0)
	v_or3_b32 v3, v3, 0, 0
	v_and_b32_e32 v13, 0xff0000, v2
	v_and_b32_e32 v14, 0xff000000, v2
	v_or3_b32 v8, 0, v8, v12
	v_or3_b32 v2, v3, 0, 0
	;; [unrolled: 1-line block ×3, first 2 shown]
	v_add_u32_e32 v8, 8, v31
.LBB1_38:                               ;   in Loop: Header=BB1_30 Depth=1
	s_or_b64 exec, exec, s[4:5]
	v_cmp_gt_u32_e64 s[4:5], 8, v9
                                        ; implicit-def: $vgpr12_vgpr13
                                        ; implicit-def: $sgpr14
	s_and_saveexec_b64 s[6:7], s[4:5]
	s_xor_b64 s[6:7], exec, s[6:7]
	s_cbranch_execz .LBB1_44
; %bb.39:                               ;   in Loop: Header=BB1_30 Depth=1
	v_cmp_ne_u32_e64 s[4:5], 0, v9
	v_pk_mov_b32 v[12:13], 0, 0
	s_and_saveexec_b64 s[14:15], s[4:5]
	s_cbranch_execz .LBB1_43
; %bb.40:                               ;   in Loop: Header=BB1_30 Depth=1
	s_mov_b32 s22, 0
	s_mov_b64 s[16:17], 0
	v_pk_mov_b32 v[12:13], 0, 0
	s_mov_b64 s[18:19], 0
.LBB1_41:                               ;   Parent Loop BB1_30 Depth=1
                                        ; =>  This Inner Loop Header: Depth=2
	v_add_u32_e32 v14, s22, v8
	buffer_load_ubyte v14, v14, s[0:3], 0 offen
	v_mov_b32_e32 v15, s20
	s_add_i32 s22, s22, 1
	v_cmp_eq_u32_e64 s[4:5], s22, v9
	s_waitcnt vmcnt(0)
	v_and_b32_e32 v14, 0xffff, v14
	v_lshlrev_b64 v[14:15], s18, v[14:15]
	s_add_u32 s18, s18, 8
	s_addc_u32 s19, s19, 0
	v_or_b32_e32 v13, v15, v13
	s_or_b64 s[16:17], s[4:5], s[16:17]
	v_or_b32_e32 v12, v14, v12
	s_andn2_b64 exec, exec, s[16:17]
	s_cbranch_execnz .LBB1_41
; %bb.42:                               ;   in Loop: Header=BB1_30 Depth=1
	s_or_b64 exec, exec, s[16:17]
.LBB1_43:                               ;   in Loop: Header=BB1_30 Depth=1
	s_or_b64 exec, exec, s[14:15]
	s_mov_b32 s14, 0
                                        ; implicit-def: $vgpr9
.LBB1_44:                               ;   in Loop: Header=BB1_30 Depth=1
	s_or_saveexec_b64 s[4:5], s[6:7]
	v_mov_b32_e32 v16, s14
	s_xor_b64 exec, exec, s[4:5]
	s_cbranch_execz .LBB1_46
; %bb.45:                               ;   in Loop: Header=BB1_30 Depth=1
	buffer_load_dword v12, v8, s[0:3], 0 offen offset:4
	buffer_load_dword v13, v8, s[0:3], 0 offen
	v_add_u32_e32 v16, -8, v9
	v_add_u32_e32 v8, 8, v8
	s_waitcnt vmcnt(1)
	v_and_b32_e32 v9, 0xff, v12
	v_and_b32_e32 v14, 0xff00, v12
	s_waitcnt vmcnt(0)
	v_or3_b32 v13, v13, 0, 0
	v_and_b32_e32 v15, 0xff0000, v12
	v_and_b32_e32 v17, 0xff000000, v12
	v_or3_b32 v9, 0, v9, v14
	v_or3_b32 v12, v13, 0, 0
	;; [unrolled: 1-line block ×3, first 2 shown]
.LBB1_46:                               ;   in Loop: Header=BB1_30 Depth=1
	s_or_b64 exec, exec, s[4:5]
	v_cmp_gt_u32_e64 s[4:5], 8, v16
                                        ; implicit-def: $sgpr14
	s_and_saveexec_b64 s[6:7], s[4:5]
	s_xor_b64 s[6:7], exec, s[6:7]
	s_cbranch_execz .LBB1_52
; %bb.47:                               ;   in Loop: Header=BB1_30 Depth=1
	v_cmp_ne_u32_e64 s[4:5], 0, v16
	v_pk_mov_b32 v[14:15], 0, 0
	s_and_saveexec_b64 s[14:15], s[4:5]
	s_cbranch_execz .LBB1_51
; %bb.48:                               ;   in Loop: Header=BB1_30 Depth=1
	s_mov_b32 s22, 0
	s_mov_b64 s[16:17], 0
	v_pk_mov_b32 v[14:15], 0, 0
	s_mov_b64 s[18:19], 0
.LBB1_49:                               ;   Parent Loop BB1_30 Depth=1
                                        ; =>  This Inner Loop Header: Depth=2
	v_add_u32_e32 v9, s22, v8
	buffer_load_ubyte v9, v9, s[0:3], 0 offen
	v_mov_b32_e32 v19, s20
	s_add_i32 s22, s22, 1
	v_cmp_eq_u32_e64 s[4:5], s22, v16
	s_waitcnt vmcnt(0)
	v_and_b32_e32 v18, 0xffff, v9
	v_lshlrev_b64 v[18:19], s18, v[18:19]
	s_add_u32 s18, s18, 8
	s_addc_u32 s19, s19, 0
	v_or_b32_e32 v15, v19, v15
	s_or_b64 s[16:17], s[4:5], s[16:17]
	v_or_b32_e32 v14, v18, v14
	s_andn2_b64 exec, exec, s[16:17]
	s_cbranch_execnz .LBB1_49
; %bb.50:                               ;   in Loop: Header=BB1_30 Depth=1
	s_or_b64 exec, exec, s[16:17]
.LBB1_51:                               ;   in Loop: Header=BB1_30 Depth=1
	s_or_b64 exec, exec, s[14:15]
	s_mov_b32 s14, 0
                                        ; implicit-def: $vgpr16
.LBB1_52:                               ;   in Loop: Header=BB1_30 Depth=1
	s_or_saveexec_b64 s[4:5], s[6:7]
	v_mov_b32_e32 v9, s14
	s_xor_b64 exec, exec, s[4:5]
	s_cbranch_execz .LBB1_54
; %bb.53:                               ;   in Loop: Header=BB1_30 Depth=1
	buffer_load_dword v14, v8, s[0:3], 0 offen offset:4
	buffer_load_dword v15, v8, s[0:3], 0 offen
	v_add_u32_e32 v9, -8, v16
	v_add_u32_e32 v8, 8, v8
	s_waitcnt vmcnt(1)
	v_and_b32_e32 v16, 0xff, v14
	v_and_b32_e32 v17, 0xff00, v14
	s_waitcnt vmcnt(0)
	v_or3_b32 v15, v15, 0, 0
	v_and_b32_e32 v18, 0xff0000, v14
	v_and_b32_e32 v19, 0xff000000, v14
	v_or3_b32 v16, 0, v16, v17
	v_or3_b32 v14, v15, 0, 0
	;; [unrolled: 1-line block ×3, first 2 shown]
.LBB1_54:                               ;   in Loop: Header=BB1_30 Depth=1
	s_or_b64 exec, exec, s[4:5]
	v_cmp_gt_u32_e64 s[4:5], 8, v9
                                        ; implicit-def: $vgpr16_vgpr17
                                        ; implicit-def: $sgpr14
	s_and_saveexec_b64 s[6:7], s[4:5]
	s_xor_b64 s[6:7], exec, s[6:7]
	s_cbranch_execz .LBB1_60
; %bb.55:                               ;   in Loop: Header=BB1_30 Depth=1
	v_cmp_ne_u32_e64 s[4:5], 0, v9
	v_pk_mov_b32 v[16:17], 0, 0
	s_and_saveexec_b64 s[14:15], s[4:5]
	s_cbranch_execz .LBB1_59
; %bb.56:                               ;   in Loop: Header=BB1_30 Depth=1
	s_mov_b32 s22, 0
	s_mov_b64 s[16:17], 0
	v_pk_mov_b32 v[16:17], 0, 0
	s_mov_b64 s[18:19], 0
.LBB1_57:                               ;   Parent Loop BB1_30 Depth=1
                                        ; =>  This Inner Loop Header: Depth=2
	v_add_u32_e32 v18, s22, v8
	buffer_load_ubyte v18, v18, s[0:3], 0 offen
	v_mov_b32_e32 v19, s20
	s_add_i32 s22, s22, 1
	v_cmp_eq_u32_e64 s[4:5], s22, v9
	s_waitcnt vmcnt(0)
	v_and_b32_e32 v18, 0xffff, v18
	v_lshlrev_b64 v[18:19], s18, v[18:19]
	s_add_u32 s18, s18, 8
	s_addc_u32 s19, s19, 0
	v_or_b32_e32 v17, v19, v17
	s_or_b64 s[16:17], s[4:5], s[16:17]
	v_or_b32_e32 v16, v18, v16
	s_andn2_b64 exec, exec, s[16:17]
	s_cbranch_execnz .LBB1_57
; %bb.58:                               ;   in Loop: Header=BB1_30 Depth=1
	s_or_b64 exec, exec, s[16:17]
.LBB1_59:                               ;   in Loop: Header=BB1_30 Depth=1
	s_or_b64 exec, exec, s[14:15]
	s_mov_b32 s14, 0
                                        ; implicit-def: $vgpr9
.LBB1_60:                               ;   in Loop: Header=BB1_30 Depth=1
	s_or_saveexec_b64 s[4:5], s[6:7]
	v_mov_b32_e32 v20, s14
	s_xor_b64 exec, exec, s[4:5]
	s_cbranch_execz .LBB1_62
; %bb.61:                               ;   in Loop: Header=BB1_30 Depth=1
	buffer_load_dword v16, v8, s[0:3], 0 offen offset:4
	buffer_load_dword v17, v8, s[0:3], 0 offen
	v_add_u32_e32 v20, -8, v9
	v_add_u32_e32 v8, 8, v8
	s_waitcnt vmcnt(1)
	v_and_b32_e32 v9, 0xff, v16
	v_and_b32_e32 v18, 0xff00, v16
	s_waitcnt vmcnt(0)
	v_or3_b32 v17, v17, 0, 0
	v_and_b32_e32 v19, 0xff0000, v16
	v_and_b32_e32 v21, 0xff000000, v16
	v_or3_b32 v9, 0, v9, v18
	v_or3_b32 v16, v17, 0, 0
	v_or3_b32 v17, v9, v19, v21
.LBB1_62:                               ;   in Loop: Header=BB1_30 Depth=1
	s_or_b64 exec, exec, s[4:5]
	v_cmp_gt_u32_e64 s[4:5], 8, v20
                                        ; implicit-def: $sgpr14
	s_and_saveexec_b64 s[6:7], s[4:5]
	s_xor_b64 s[6:7], exec, s[6:7]
	s_cbranch_execz .LBB1_68
; %bb.63:                               ;   in Loop: Header=BB1_30 Depth=1
	v_cmp_ne_u32_e64 s[4:5], 0, v20
	v_pk_mov_b32 v[18:19], 0, 0
	s_and_saveexec_b64 s[14:15], s[4:5]
	s_cbranch_execz .LBB1_67
; %bb.64:                               ;   in Loop: Header=BB1_30 Depth=1
	s_mov_b32 s22, 0
	s_mov_b64 s[16:17], 0
	v_pk_mov_b32 v[18:19], 0, 0
	s_mov_b64 s[18:19], 0
.LBB1_65:                               ;   Parent Loop BB1_30 Depth=1
                                        ; =>  This Inner Loop Header: Depth=2
	v_add_u32_e32 v9, s22, v8
	buffer_load_ubyte v9, v9, s[0:3], 0 offen
	v_mov_b32_e32 v23, s20
	s_add_i32 s22, s22, 1
	v_cmp_eq_u32_e64 s[4:5], s22, v20
	s_waitcnt vmcnt(0)
	v_and_b32_e32 v22, 0xffff, v9
	v_lshlrev_b64 v[22:23], s18, v[22:23]
	s_add_u32 s18, s18, 8
	s_addc_u32 s19, s19, 0
	v_or_b32_e32 v19, v23, v19
	s_or_b64 s[16:17], s[4:5], s[16:17]
	v_or_b32_e32 v18, v22, v18
	s_andn2_b64 exec, exec, s[16:17]
	s_cbranch_execnz .LBB1_65
; %bb.66:                               ;   in Loop: Header=BB1_30 Depth=1
	s_or_b64 exec, exec, s[16:17]
.LBB1_67:                               ;   in Loop: Header=BB1_30 Depth=1
	s_or_b64 exec, exec, s[14:15]
	s_mov_b32 s14, 0
                                        ; implicit-def: $vgpr20
.LBB1_68:                               ;   in Loop: Header=BB1_30 Depth=1
	s_or_saveexec_b64 s[4:5], s[6:7]
	v_mov_b32_e32 v9, s14
	s_xor_b64 exec, exec, s[4:5]
	s_cbranch_execz .LBB1_70
; %bb.69:                               ;   in Loop: Header=BB1_30 Depth=1
	buffer_load_dword v18, v8, s[0:3], 0 offen offset:4
	buffer_load_dword v19, v8, s[0:3], 0 offen
	v_add_u32_e32 v9, -8, v20
	v_add_u32_e32 v8, 8, v8
	s_waitcnt vmcnt(1)
	v_and_b32_e32 v20, 0xff, v18
	v_and_b32_e32 v21, 0xff00, v18
	s_waitcnt vmcnt(0)
	v_or3_b32 v19, v19, 0, 0
	v_and_b32_e32 v22, 0xff0000, v18
	v_and_b32_e32 v23, 0xff000000, v18
	v_or3_b32 v20, 0, v20, v21
	v_or3_b32 v18, v19, 0, 0
	v_or3_b32 v19, v20, v22, v23
.LBB1_70:                               ;   in Loop: Header=BB1_30 Depth=1
	s_or_b64 exec, exec, s[4:5]
	v_cmp_gt_u32_e64 s[4:5], 8, v9
                                        ; implicit-def: $vgpr20_vgpr21
                                        ; implicit-def: $sgpr14
	s_and_saveexec_b64 s[6:7], s[4:5]
	s_xor_b64 s[6:7], exec, s[6:7]
	s_cbranch_execz .LBB1_76
; %bb.71:                               ;   in Loop: Header=BB1_30 Depth=1
	v_cmp_ne_u32_e64 s[4:5], 0, v9
	v_pk_mov_b32 v[20:21], 0, 0
	s_and_saveexec_b64 s[14:15], s[4:5]
	s_cbranch_execz .LBB1_75
; %bb.72:                               ;   in Loop: Header=BB1_30 Depth=1
	s_mov_b32 s22, 0
	s_mov_b64 s[16:17], 0
	v_pk_mov_b32 v[20:21], 0, 0
	s_mov_b64 s[18:19], 0
.LBB1_73:                               ;   Parent Loop BB1_30 Depth=1
                                        ; =>  This Inner Loop Header: Depth=2
	v_add_u32_e32 v22, s22, v8
	buffer_load_ubyte v22, v22, s[0:3], 0 offen
	v_mov_b32_e32 v23, s20
	s_add_i32 s22, s22, 1
	v_cmp_eq_u32_e64 s[4:5], s22, v9
	s_waitcnt vmcnt(0)
	v_and_b32_e32 v22, 0xffff, v22
	v_lshlrev_b64 v[22:23], s18, v[22:23]
	s_add_u32 s18, s18, 8
	s_addc_u32 s19, s19, 0
	v_or_b32_e32 v21, v23, v21
	s_or_b64 s[16:17], s[4:5], s[16:17]
	v_or_b32_e32 v20, v22, v20
	s_andn2_b64 exec, exec, s[16:17]
	s_cbranch_execnz .LBB1_73
; %bb.74:                               ;   in Loop: Header=BB1_30 Depth=1
	s_or_b64 exec, exec, s[16:17]
.LBB1_75:                               ;   in Loop: Header=BB1_30 Depth=1
	s_or_b64 exec, exec, s[14:15]
	s_mov_b32 s14, 0
                                        ; implicit-def: $vgpr9
.LBB1_76:                               ;   in Loop: Header=BB1_30 Depth=1
	s_or_saveexec_b64 s[4:5], s[6:7]
	v_mov_b32_e32 v24, s14
	s_xor_b64 exec, exec, s[4:5]
	s_cbranch_execz .LBB1_78
; %bb.77:                               ;   in Loop: Header=BB1_30 Depth=1
	buffer_load_dword v20, v8, s[0:3], 0 offen offset:4
	buffer_load_dword v21, v8, s[0:3], 0 offen
	v_add_u32_e32 v24, -8, v9
	v_add_u32_e32 v8, 8, v8
	s_waitcnt vmcnt(1)
	v_and_b32_e32 v9, 0xff, v20
	v_and_b32_e32 v22, 0xff00, v20
	s_waitcnt vmcnt(0)
	v_or3_b32 v21, v21, 0, 0
	v_and_b32_e32 v23, 0xff0000, v20
	v_and_b32_e32 v25, 0xff000000, v20
	v_or3_b32 v9, 0, v9, v22
	v_or3_b32 v20, v21, 0, 0
	;; [unrolled: 1-line block ×3, first 2 shown]
.LBB1_78:                               ;   in Loop: Header=BB1_30 Depth=1
	s_or_b64 exec, exec, s[4:5]
	v_cmp_gt_u32_e64 s[4:5], 8, v24
	s_and_saveexec_b64 s[6:7], s[4:5]
	s_xor_b64 s[6:7], exec, s[6:7]
	s_cbranch_execz .LBB1_84
; %bb.79:                               ;   in Loop: Header=BB1_30 Depth=1
	v_cmp_ne_u32_e64 s[4:5], 0, v24
	v_pk_mov_b32 v[22:23], 0, 0
	s_and_saveexec_b64 s[14:15], s[4:5]
	s_cbranch_execz .LBB1_83
; %bb.80:                               ;   in Loop: Header=BB1_30 Depth=1
	s_mov_b64 s[16:17], 0
	v_pk_mov_b32 v[22:23], 0, 0
	s_mov_b64 s[18:19], 0
.LBB1_81:                               ;   Parent Loop BB1_30 Depth=1
                                        ; =>  This Inner Loop Header: Depth=2
	buffer_load_ubyte v9, v8, s[0:3], 0 offen
	v_mov_b32_e32 v27, s20
	v_add_u32_e32 v24, -1, v24
	v_cmp_eq_u32_e64 s[4:5], 0, v24
	v_add_u32_e32 v8, 1, v8
	s_waitcnt vmcnt(0)
	v_and_b32_e32 v26, 0xffff, v9
	v_lshlrev_b64 v[26:27], s18, v[26:27]
	s_add_u32 s18, s18, 8
	s_addc_u32 s19, s19, 0
	v_or_b32_e32 v23, v27, v23
	s_or_b64 s[16:17], s[4:5], s[16:17]
	v_or_b32_e32 v22, v26, v22
	s_andn2_b64 exec, exec, s[16:17]
	s_cbranch_execnz .LBB1_81
; %bb.82:                               ;   in Loop: Header=BB1_30 Depth=1
	s_or_b64 exec, exec, s[16:17]
.LBB1_83:                               ;   in Loop: Header=BB1_30 Depth=1
	s_or_b64 exec, exec, s[14:15]
                                        ; implicit-def: $vgpr8
.LBB1_84:                               ;   in Loop: Header=BB1_30 Depth=1
	s_andn2_saveexec_b64 s[4:5], s[6:7]
	s_cbranch_execz .LBB1_86
; %bb.85:                               ;   in Loop: Header=BB1_30 Depth=1
	buffer_load_dword v9, v8, s[0:3], 0 offen offset:4
	buffer_load_dword v22, v8, s[0:3], 0 offen
	s_waitcnt vmcnt(1)
	v_and_b32_e32 v8, 0xff, v9
	v_and_b32_e32 v23, 0xff00, v9
	s_waitcnt vmcnt(0)
	v_or3_b32 v22, v22, 0, 0
	v_and_b32_e32 v24, 0xff0000, v9
	v_and_b32_e32 v9, 0xff000000, v9
	v_or3_b32 v8, 0, v8, v23
	v_or3_b32 v23, v8, v24, v9
	;; [unrolled: 1-line block ×3, first 2 shown]
.LBB1_86:                               ;   in Loop: Header=BB1_30 Depth=1
	s_or_b64 exec, exec, s[4:5]
	v_readfirstlane_b32 s4, v37
	v_cmp_eq_u32_e64 s[4:5], s4, v37
	v_pk_mov_b32 v[8:9], 0, 0
	s_and_saveexec_b64 s[14:15], s[4:5]
	s_cbranch_execz .LBB1_92
; %bb.87:                               ;   in Loop: Header=BB1_30 Depth=1
	global_load_dwordx2 v[26:27], v33, s[10:11] offset:24 glc
	s_waitcnt vmcnt(0)
	buffer_invl2
	buffer_wbinvl1_vol
	global_load_dwordx2 v[8:9], v33, s[10:11] offset:40
	global_load_dwordx2 v[24:25], v33, s[10:11]
	s_waitcnt vmcnt(1)
	v_and_b32_e32 v8, v8, v26
	v_and_b32_e32 v9, v9, v27
	v_mul_lo_u32 v9, v9, 24
	v_mul_hi_u32 v32, v8, 24
	v_mul_lo_u32 v8, v8, 24
	v_add_u32_e32 v9, v32, v9
	s_waitcnt vmcnt(0)
	v_add_co_u32_e64 v8, s[6:7], v24, v8
	v_addc_co_u32_e64 v9, s[6:7], v25, v9, s[6:7]
	global_load_dwordx2 v[24:25], v[8:9], off glc
	s_waitcnt vmcnt(0)
	global_atomic_cmpswap_x2 v[8:9], v33, v[24:27], s[10:11] offset:24 glc
	s_waitcnt vmcnt(0)
	buffer_invl2
	buffer_wbinvl1_vol
	v_cmp_ne_u64_e64 s[6:7], v[8:9], v[26:27]
	s_and_saveexec_b64 s[16:17], s[6:7]
	s_cbranch_execz .LBB1_91
; %bb.88:                               ;   in Loop: Header=BB1_30 Depth=1
	s_mov_b64 s[18:19], 0
.LBB1_89:                               ;   Parent Loop BB1_30 Depth=1
                                        ; =>  This Inner Loop Header: Depth=2
	s_sleep 1
	global_load_dwordx2 v[24:25], v33, s[10:11] offset:40
	global_load_dwordx2 v[34:35], v33, s[10:11]
	v_pk_mov_b32 v[26:27], v[8:9], v[8:9] op_sel:[0,1]
	s_waitcnt vmcnt(1)
	v_and_b32_e32 v8, v24, v26
	s_waitcnt vmcnt(0)
	v_mad_u64_u32 v[8:9], s[6:7], v8, 24, v[34:35]
	v_and_b32_e32 v25, v25, v27
	v_mov_b32_e32 v24, v9
	v_mad_u64_u32 v[24:25], s[6:7], v25, 24, v[24:25]
	v_mov_b32_e32 v9, v24
	global_load_dwordx2 v[24:25], v[8:9], off glc
	s_waitcnt vmcnt(0)
	global_atomic_cmpswap_x2 v[8:9], v33, v[24:27], s[10:11] offset:24 glc
	s_waitcnt vmcnt(0)
	buffer_invl2
	buffer_wbinvl1_vol
	v_cmp_eq_u64_e64 s[6:7], v[8:9], v[26:27]
	s_or_b64 s[18:19], s[6:7], s[18:19]
	s_andn2_b64 exec, exec, s[18:19]
	s_cbranch_execnz .LBB1_89
; %bb.90:                               ;   in Loop: Header=BB1_30 Depth=1
	s_or_b64 exec, exec, s[18:19]
.LBB1_91:                               ;   in Loop: Header=BB1_30 Depth=1
	s_or_b64 exec, exec, s[16:17]
.LBB1_92:                               ;   in Loop: Header=BB1_30 Depth=1
	s_or_b64 exec, exec, s[14:15]
	global_load_dwordx2 v[34:35], v33, s[10:11] offset:40
	global_load_dwordx4 v[24:27], v33, s[10:11]
	v_readfirstlane_b32 s14, v8
	v_readfirstlane_b32 s15, v9
	s_mov_b64 s[16:17], exec
	s_waitcnt vmcnt(1)
	v_readfirstlane_b32 s6, v34
	v_readfirstlane_b32 s7, v35
	s_and_b64 s[18:19], s[14:15], s[6:7]
	s_mul_i32 s6, s19, 24
	s_mul_hi_u32 s7, s18, 24
	s_mul_i32 s22, s18, 24
	s_add_i32 s6, s7, s6
	v_mov_b32_e32 v8, s6
	s_waitcnt vmcnt(0)
	v_add_co_u32_e64 v34, s[6:7], s22, v24
	v_addc_co_u32_e64 v35, s[6:7], v25, v8, s[6:7]
	s_and_saveexec_b64 s[6:7], s[4:5]
	s_cbranch_execz .LBB1_94
; %bb.93:                               ;   in Loop: Header=BB1_30 Depth=1
	v_pk_mov_b32 v[8:9], s[16:17], s[16:17] op_sel:[0,1]
	global_store_dwordx4 v[34:35], v[8:11], off offset:8
.LBB1_94:                               ;   in Loop: Header=BB1_30 Depth=1
	s_or_b64 exec, exec, s[6:7]
	s_lshl_b64 s[6:7], s[18:19], 12
	v_cndmask_b32_e32 v39, 0, v29, vcc
	v_mov_b32_e32 v9, s7
	v_add_co_u32_e32 v8, vcc, s6, v26
	v_addc_co_u32_e32 v9, vcc, v27, v9, vcc
	v_or_b32_e32 v26, 0, v1
	v_cmp_lt_u64_e32 vcc, 56, v[28:29]
	v_or_b32_e32 v27, v0, v30
	v_cndmask_b32_e32 v1, v26, v1, vcc
	v_lshl_add_u32 v26, v38, 2, 28
	v_cndmask_b32_e32 v0, v27, v0, vcc
	v_and_b32_e32 v26, 0x1e0, v26
	v_and_or_b32 v0, v0, s21, v26
	v_readfirstlane_b32 s6, v8
	v_readfirstlane_b32 s7, v9
	s_nop 4
	global_store_dwordx4 v36, v[0:3], s[6:7]
	global_store_dwordx4 v36, v[12:15], s[6:7] offset:16
	global_store_dwordx4 v36, v[16:19], s[6:7] offset:32
	;; [unrolled: 1-line block ×3, first 2 shown]
	s_and_saveexec_b64 s[6:7], s[4:5]
	s_cbranch_execz .LBB1_102
; %bb.95:                               ;   in Loop: Header=BB1_30 Depth=1
	global_load_dwordx2 v[16:17], v33, s[10:11] offset:32 glc
	global_load_dwordx2 v[0:1], v33, s[10:11] offset:40
	v_mov_b32_e32 v14, s14
	v_mov_b32_e32 v15, s15
	s_waitcnt vmcnt(0)
	v_readfirstlane_b32 s16, v0
	v_readfirstlane_b32 s17, v1
	s_and_b64 s[16:17], s[16:17], s[14:15]
	s_mul_i32 s17, s17, 24
	s_mul_hi_u32 s18, s16, 24
	s_mul_i32 s16, s16, 24
	s_add_i32 s17, s18, s17
	v_mov_b32_e32 v0, s17
	v_add_co_u32_e32 v12, vcc, s16, v24
	v_addc_co_u32_e32 v13, vcc, v25, v0, vcc
	global_store_dwordx2 v[12:13], v[16:17], off
	buffer_wbl2
	s_waitcnt vmcnt(0)
	global_atomic_cmpswap_x2 v[2:3], v33, v[14:17], s[10:11] offset:32 glc
	s_waitcnt vmcnt(0)
	v_cmp_ne_u64_e32 vcc, v[2:3], v[16:17]
	s_and_saveexec_b64 s[16:17], vcc
	s_cbranch_execz .LBB1_98
; %bb.96:                               ;   in Loop: Header=BB1_30 Depth=1
	s_mov_b64 s[18:19], 0
.LBB1_97:                               ;   Parent Loop BB1_30 Depth=1
                                        ; =>  This Inner Loop Header: Depth=2
	s_sleep 1
	global_store_dwordx2 v[12:13], v[2:3], off
	v_mov_b32_e32 v0, s14
	v_mov_b32_e32 v1, s15
	buffer_wbl2
	s_waitcnt vmcnt(0)
	global_atomic_cmpswap_x2 v[0:1], v33, v[0:3], s[10:11] offset:32 glc
	s_waitcnt vmcnt(0)
	v_cmp_eq_u64_e32 vcc, v[0:1], v[2:3]
	s_or_b64 s[18:19], vcc, s[18:19]
	v_pk_mov_b32 v[2:3], v[0:1], v[0:1] op_sel:[0,1]
	s_andn2_b64 exec, exec, s[18:19]
	s_cbranch_execnz .LBB1_97
.LBB1_98:                               ;   in Loop: Header=BB1_30 Depth=1
	s_or_b64 exec, exec, s[16:17]
	global_load_dwordx2 v[0:1], v33, s[10:11] offset:16
	s_mov_b64 s[18:19], exec
	v_mbcnt_lo_u32_b32 v2, s18, 0
	v_mbcnt_hi_u32_b32 v2, s19, v2
	v_cmp_eq_u32_e32 vcc, 0, v2
	s_and_saveexec_b64 s[16:17], vcc
	s_cbranch_execz .LBB1_100
; %bb.99:                               ;   in Loop: Header=BB1_30 Depth=1
	s_bcnt1_i32_b64 s18, s[18:19]
	v_mov_b32_e32 v32, s18
	buffer_wbl2
	s_waitcnt vmcnt(0)
	global_atomic_add_x2 v[0:1], v[32:33], off offset:8
.LBB1_100:                              ;   in Loop: Header=BB1_30 Depth=1
	s_or_b64 exec, exec, s[16:17]
	s_waitcnt vmcnt(0)
	global_load_dwordx2 v[2:3], v[0:1], off offset:16
	s_waitcnt vmcnt(0)
	v_cmp_eq_u64_e32 vcc, 0, v[2:3]
	s_cbranch_vccnz .LBB1_102
; %bb.101:                              ;   in Loop: Header=BB1_30 Depth=1
	global_load_dword v32, v[0:1], off offset:24
	s_waitcnt vmcnt(0)
	v_and_b32_e32 v0, 0xffffff, v32
	v_readfirstlane_b32 m0, v0
	buffer_wbl2
	global_store_dwordx2 v[2:3], v[32:33], off
	s_sendmsg sendmsg(MSG_INTERRUPT)
.LBB1_102:                              ;   in Loop: Header=BB1_30 Depth=1
	s_or_b64 exec, exec, s[6:7]
	v_add_co_u32_e32 v0, vcc, v8, v36
	v_addc_co_u32_e32 v1, vcc, 0, v9, vcc
	s_branch .LBB1_106
.LBB1_103:                              ;   in Loop: Header=BB1_106 Depth=2
	s_or_b64 exec, exec, s[6:7]
	v_readfirstlane_b32 s6, v2
	s_cmp_eq_u32 s6, 0
	s_cbranch_scc1 .LBB1_105
; %bb.104:                              ;   in Loop: Header=BB1_106 Depth=2
	s_sleep 1
	s_cbranch_execnz .LBB1_106
	s_branch .LBB1_108
.LBB1_105:                              ;   in Loop: Header=BB1_30 Depth=1
	s_branch .LBB1_108
.LBB1_106:                              ;   Parent Loop BB1_30 Depth=1
                                        ; =>  This Inner Loop Header: Depth=2
	v_mov_b32_e32 v2, 1
	s_and_saveexec_b64 s[6:7], s[4:5]
	s_cbranch_execz .LBB1_103
; %bb.107:                              ;   in Loop: Header=BB1_106 Depth=2
	global_load_dword v2, v[34:35], off offset:20 glc
	s_waitcnt vmcnt(0)
	buffer_invl2
	buffer_wbinvl1_vol
	v_and_b32_e32 v2, 1, v2
	s_branch .LBB1_103
.LBB1_108:                              ;   in Loop: Header=BB1_30 Depth=1
	global_load_dwordx4 v[0:3], v[0:1], off
	s_and_saveexec_b64 s[6:7], s[4:5]
	s_cbranch_execz .LBB1_29
; %bb.109:                              ;   in Loop: Header=BB1_30 Depth=1
	global_load_dwordx2 v[2:3], v33, s[10:11] offset:40
	global_load_dwordx2 v[8:9], v33, s[10:11] offset:24 glc
	global_load_dwordx2 v[16:17], v33, s[10:11]
	v_mov_b32_e32 v13, s15
	s_waitcnt vmcnt(2)
	v_add_co_u32_e32 v15, vcc, 1, v2
	v_addc_co_u32_e32 v18, vcc, 0, v3, vcc
	v_add_co_u32_e32 v12, vcc, s14, v15
	v_addc_co_u32_e32 v13, vcc, v18, v13, vcc
	v_cmp_eq_u64_e32 vcc, 0, v[12:13]
	v_cndmask_b32_e32 v13, v13, v18, vcc
	v_cndmask_b32_e32 v12, v12, v15, vcc
	v_and_b32_e32 v3, v13, v3
	v_and_b32_e32 v2, v12, v2
	v_mul_lo_u32 v3, v3, 24
	v_mul_hi_u32 v15, v2, 24
	v_mul_lo_u32 v2, v2, 24
	v_add_u32_e32 v3, v15, v3
	s_waitcnt vmcnt(0)
	v_add_co_u32_e32 v2, vcc, v16, v2
	v_addc_co_u32_e32 v3, vcc, v17, v3, vcc
	v_mov_b32_e32 v14, v8
	global_store_dwordx2 v[2:3], v[8:9], off
	v_mov_b32_e32 v15, v9
	buffer_wbl2
	s_waitcnt vmcnt(0)
	global_atomic_cmpswap_x2 v[14:15], v33, v[12:15], s[10:11] offset:24 glc
	s_waitcnt vmcnt(0)
	v_cmp_ne_u64_e32 vcc, v[14:15], v[8:9]
	s_and_b64 exec, exec, vcc
	s_cbranch_execz .LBB1_29
; %bb.110:                              ;   in Loop: Header=BB1_30 Depth=1
	s_mov_b64 s[4:5], 0
.LBB1_111:                              ;   Parent Loop BB1_30 Depth=1
                                        ; =>  This Inner Loop Header: Depth=2
	s_sleep 1
	global_store_dwordx2 v[2:3], v[14:15], off
	buffer_wbl2
	s_waitcnt vmcnt(0)
	global_atomic_cmpswap_x2 v[8:9], v33, v[12:15], s[10:11] offset:24 glc
	s_waitcnt vmcnt(0)
	v_cmp_eq_u64_e32 vcc, v[8:9], v[14:15]
	s_or_b64 s[4:5], vcc, s[4:5]
	v_pk_mov_b32 v[14:15], v[8:9], v[8:9] op_sel:[0,1]
	s_andn2_b64 exec, exec, s[4:5]
	s_cbranch_execnz .LBB1_111
	s_branch .LBB1_29
.LBB1_112:
                                        ; implicit-def: $vgpr0_vgpr1
	s_cbranch_execnz .LBB1_114
	s_branch .LBB1_140
.LBB1_113:
	s_or_b64 exec, exec, s[12:13]
	s_branch .LBB1_140
.LBB1_114:
	v_readfirstlane_b32 s4, v37
	v_cmp_eq_u32_e64 s[4:5], s4, v37
	v_pk_mov_b32 v[10:11], 0, 0
	s_and_saveexec_b64 s[6:7], s[4:5]
	s_cbranch_execz .LBB1_120
; %bb.115:
	s_waitcnt vmcnt(0)
	v_mov_b32_e32 v0, 0
	global_load_dwordx2 v[12:13], v0, s[10:11] offset:24 glc
	s_waitcnt vmcnt(0)
	buffer_invl2
	buffer_wbinvl1_vol
	global_load_dwordx2 v[2:3], v0, s[10:11] offset:40
	global_load_dwordx2 v[8:9], v0, s[10:11]
	s_waitcnt vmcnt(1)
	v_and_b32_e32 v1, v2, v12
	v_and_b32_e32 v2, v3, v13
	v_mul_lo_u32 v2, v2, 24
	v_mul_hi_u32 v3, v1, 24
	v_mul_lo_u32 v1, v1, 24
	v_add_u32_e32 v3, v3, v2
	s_waitcnt vmcnt(0)
	v_add_co_u32_e32 v2, vcc, v8, v1
	v_addc_co_u32_e32 v3, vcc, v9, v3, vcc
	global_load_dwordx2 v[10:11], v[2:3], off glc
	s_waitcnt vmcnt(0)
	global_atomic_cmpswap_x2 v[10:11], v0, v[10:13], s[10:11] offset:24 glc
	s_waitcnt vmcnt(0)
	buffer_invl2
	buffer_wbinvl1_vol
	v_cmp_ne_u64_e32 vcc, v[10:11], v[12:13]
	s_and_saveexec_b64 s[12:13], vcc
	s_cbranch_execz .LBB1_119
; %bb.116:
	s_mov_b64 s[14:15], 0
.LBB1_117:                              ; =>This Inner Loop Header: Depth=1
	s_sleep 1
	global_load_dwordx2 v[2:3], v0, s[10:11] offset:40
	global_load_dwordx2 v[8:9], v0, s[10:11]
	v_pk_mov_b32 v[12:13], v[10:11], v[10:11] op_sel:[0,1]
	s_waitcnt vmcnt(1)
	v_and_b32_e32 v2, v2, v12
	v_and_b32_e32 v1, v3, v13
	s_waitcnt vmcnt(0)
	v_mad_u64_u32 v[2:3], s[16:17], v2, 24, v[8:9]
	v_mov_b32_e32 v8, v3
	v_mad_u64_u32 v[8:9], s[16:17], v1, 24, v[8:9]
	v_mov_b32_e32 v3, v8
	global_load_dwordx2 v[10:11], v[2:3], off glc
	s_waitcnt vmcnt(0)
	global_atomic_cmpswap_x2 v[10:11], v0, v[10:13], s[10:11] offset:24 glc
	s_waitcnt vmcnt(0)
	buffer_invl2
	buffer_wbinvl1_vol
	v_cmp_eq_u64_e32 vcc, v[10:11], v[12:13]
	s_or_b64 s[14:15], vcc, s[14:15]
	s_andn2_b64 exec, exec, s[14:15]
	s_cbranch_execnz .LBB1_117
; %bb.118:
	s_or_b64 exec, exec, s[14:15]
.LBB1_119:
	s_or_b64 exec, exec, s[12:13]
.LBB1_120:
	s_or_b64 exec, exec, s[6:7]
	v_mov_b32_e32 v8, 0
	global_load_dwordx2 v[12:13], v8, s[10:11] offset:40
	global_load_dwordx4 v[0:3], v8, s[10:11]
	v_readfirstlane_b32 s6, v10
	v_readfirstlane_b32 s7, v11
	s_mov_b64 s[12:13], exec
	s_waitcnt vmcnt(1)
	v_readfirstlane_b32 s14, v12
	v_readfirstlane_b32 s15, v13
	s_and_b64 s[14:15], s[6:7], s[14:15]
	s_mul_i32 s16, s15, 24
	s_mul_hi_u32 s17, s14, 24
	s_mul_i32 s18, s14, 24
	s_add_i32 s16, s17, s16
	v_mov_b32_e32 v9, s16
	s_waitcnt vmcnt(0)
	v_add_co_u32_e32 v10, vcc, s18, v0
	v_addc_co_u32_e32 v11, vcc, v1, v9, vcc
	s_and_saveexec_b64 s[16:17], s[4:5]
	s_cbranch_execz .LBB1_122
; %bb.121:
	v_pk_mov_b32 v[12:13], s[12:13], s[12:13] op_sel:[0,1]
	v_mov_b32_e32 v14, 2
	v_mov_b32_e32 v15, 1
	global_store_dwordx4 v[10:11], v[12:15], off offset:8
.LBB1_122:
	s_or_b64 exec, exec, s[16:17]
	s_lshl_b64 s[12:13], s[14:15], 12
	v_mov_b32_e32 v9, s13
	v_add_co_u32_e32 v2, vcc, s12, v2
	s_movk_i32 s12, 0xff1f
	v_addc_co_u32_e32 v3, vcc, v3, v9, vcc
	v_and_or_b32 v6, v6, s12, 32
	s_mov_b32 s12, 0
	v_mov_b32_e32 v9, v8
	v_readfirstlane_b32 s16, v2
	v_readfirstlane_b32 s17, v3
	s_mov_b32 s13, s12
	v_add_co_u32_e32 v12, vcc, v2, v36
	s_mov_b32 s14, s12
	s_mov_b32 s15, s12
	s_nop 0
	global_store_dwordx4 v36, v[6:9], s[16:17]
	v_addc_co_u32_e32 v13, vcc, 0, v3, vcc
	v_pk_mov_b32 v[6:7], s[12:13], s[12:13] op_sel:[0,1]
	v_pk_mov_b32 v[8:9], s[14:15], s[14:15] op_sel:[0,1]
	global_store_dwordx4 v36, v[6:9], s[16:17] offset:16
	global_store_dwordx4 v36, v[6:9], s[16:17] offset:32
	;; [unrolled: 1-line block ×3, first 2 shown]
	s_and_saveexec_b64 s[12:13], s[4:5]
	s_cbranch_execz .LBB1_130
; %bb.123:
	v_mov_b32_e32 v8, 0
	global_load_dwordx2 v[16:17], v8, s[10:11] offset:32 glc
	global_load_dwordx2 v[2:3], v8, s[10:11] offset:40
	v_mov_b32_e32 v14, s6
	v_mov_b32_e32 v15, s7
	s_waitcnt vmcnt(0)
	v_readfirstlane_b32 s14, v2
	v_readfirstlane_b32 s15, v3
	s_and_b64 s[14:15], s[14:15], s[6:7]
	s_mul_i32 s15, s15, 24
	s_mul_hi_u32 s16, s14, 24
	s_mul_i32 s14, s14, 24
	s_add_i32 s15, s16, s15
	v_mov_b32_e32 v2, s15
	v_add_co_u32_e32 v6, vcc, s14, v0
	v_addc_co_u32_e32 v7, vcc, v1, v2, vcc
	global_store_dwordx2 v[6:7], v[16:17], off
	buffer_wbl2
	s_waitcnt vmcnt(0)
	global_atomic_cmpswap_x2 v[2:3], v8, v[14:17], s[10:11] offset:32 glc
	s_waitcnt vmcnt(0)
	v_cmp_ne_u64_e32 vcc, v[2:3], v[16:17]
	s_and_saveexec_b64 s[14:15], vcc
	s_cbranch_execz .LBB1_126
; %bb.124:
	s_mov_b64 s[16:17], 0
.LBB1_125:                              ; =>This Inner Loop Header: Depth=1
	s_sleep 1
	global_store_dwordx2 v[6:7], v[2:3], off
	v_mov_b32_e32 v0, s6
	v_mov_b32_e32 v1, s7
	buffer_wbl2
	s_waitcnt vmcnt(0)
	global_atomic_cmpswap_x2 v[0:1], v8, v[0:3], s[10:11] offset:32 glc
	s_waitcnt vmcnt(0)
	v_cmp_eq_u64_e32 vcc, v[0:1], v[2:3]
	s_or_b64 s[16:17], vcc, s[16:17]
	v_pk_mov_b32 v[2:3], v[0:1], v[0:1] op_sel:[0,1]
	s_andn2_b64 exec, exec, s[16:17]
	s_cbranch_execnz .LBB1_125
.LBB1_126:
	s_or_b64 exec, exec, s[14:15]
	v_mov_b32_e32 v3, 0
	global_load_dwordx2 v[0:1], v3, s[10:11] offset:16
	s_mov_b64 s[14:15], exec
	v_mbcnt_lo_u32_b32 v2, s14, 0
	v_mbcnt_hi_u32_b32 v2, s15, v2
	v_cmp_eq_u32_e32 vcc, 0, v2
	s_and_saveexec_b64 s[16:17], vcc
	s_cbranch_execz .LBB1_128
; %bb.127:
	s_bcnt1_i32_b64 s14, s[14:15]
	v_mov_b32_e32 v2, s14
	buffer_wbl2
	s_waitcnt vmcnt(0)
	global_atomic_add_x2 v[0:1], v[2:3], off offset:8
.LBB1_128:
	s_or_b64 exec, exec, s[16:17]
	s_waitcnt vmcnt(0)
	global_load_dwordx2 v[2:3], v[0:1], off offset:16
	s_waitcnt vmcnt(0)
	v_cmp_eq_u64_e32 vcc, 0, v[2:3]
	s_cbranch_vccnz .LBB1_130
; %bb.129:
	global_load_dword v0, v[0:1], off offset:24
	v_mov_b32_e32 v1, 0
	buffer_wbl2
	s_waitcnt vmcnt(0)
	global_store_dwordx2 v[2:3], v[0:1], off
	v_and_b32_e32 v0, 0xffffff, v0
	v_readfirstlane_b32 m0, v0
	s_sendmsg sendmsg(MSG_INTERRUPT)
.LBB1_130:
	s_or_b64 exec, exec, s[12:13]
	s_branch .LBB1_134
.LBB1_131:                              ;   in Loop: Header=BB1_134 Depth=1
	s_or_b64 exec, exec, s[12:13]
	v_readfirstlane_b32 s12, v0
	s_cmp_eq_u32 s12, 0
	s_cbranch_scc1 .LBB1_133
; %bb.132:                              ;   in Loop: Header=BB1_134 Depth=1
	s_sleep 1
	s_cbranch_execnz .LBB1_134
	s_branch .LBB1_136
.LBB1_133:
	s_branch .LBB1_136
.LBB1_134:                              ; =>This Inner Loop Header: Depth=1
	v_mov_b32_e32 v0, 1
	s_and_saveexec_b64 s[12:13], s[4:5]
	s_cbranch_execz .LBB1_131
; %bb.135:                              ;   in Loop: Header=BB1_134 Depth=1
	global_load_dword v0, v[10:11], off offset:20 glc
	s_waitcnt vmcnt(0)
	buffer_invl2
	buffer_wbinvl1_vol
	v_and_b32_e32 v0, 1, v0
	s_branch .LBB1_131
.LBB1_136:
	global_load_dwordx2 v[0:1], v[12:13], off
	s_and_saveexec_b64 s[12:13], s[4:5]
	s_cbranch_execz .LBB1_139
; %bb.137:
	v_mov_b32_e32 v10, 0
	global_load_dwordx2 v[2:3], v10, s[10:11] offset:40
	global_load_dwordx2 v[12:13], v10, s[10:11] offset:24 glc
	global_load_dwordx2 v[14:15], v10, s[10:11]
	v_mov_b32_e32 v7, s7
	s_mov_b64 s[4:5], 0
	s_waitcnt vmcnt(2)
	v_add_co_u32_e32 v9, vcc, 1, v2
	v_addc_co_u32_e32 v11, vcc, 0, v3, vcc
	v_add_co_u32_e32 v6, vcc, s6, v9
	v_addc_co_u32_e32 v7, vcc, v11, v7, vcc
	v_cmp_eq_u64_e32 vcc, 0, v[6:7]
	v_cndmask_b32_e32 v7, v7, v11, vcc
	v_cndmask_b32_e32 v6, v6, v9, vcc
	v_and_b32_e32 v3, v7, v3
	v_and_b32_e32 v2, v6, v2
	v_mul_lo_u32 v3, v3, 24
	v_mul_hi_u32 v9, v2, 24
	v_mul_lo_u32 v2, v2, 24
	v_add_u32_e32 v3, v9, v3
	s_waitcnt vmcnt(0)
	v_add_co_u32_e32 v2, vcc, v14, v2
	v_addc_co_u32_e32 v3, vcc, v15, v3, vcc
	v_mov_b32_e32 v8, v12
	global_store_dwordx2 v[2:3], v[12:13], off
	v_mov_b32_e32 v9, v13
	buffer_wbl2
	s_waitcnt vmcnt(0)
	global_atomic_cmpswap_x2 v[8:9], v10, v[6:9], s[10:11] offset:24 glc
	s_waitcnt vmcnt(0)
	v_cmp_ne_u64_e32 vcc, v[8:9], v[12:13]
	s_and_b64 exec, exec, vcc
	s_cbranch_execz .LBB1_139
.LBB1_138:                              ; =>This Inner Loop Header: Depth=1
	s_sleep 1
	global_store_dwordx2 v[2:3], v[8:9], off
	buffer_wbl2
	s_waitcnt vmcnt(0)
	global_atomic_cmpswap_x2 v[12:13], v10, v[6:9], s[10:11] offset:24 glc
	s_waitcnt vmcnt(0)
	v_cmp_eq_u64_e32 vcc, v[12:13], v[8:9]
	s_or_b64 s[4:5], vcc, s[4:5]
	v_pk_mov_b32 v[8:9], v[12:13], v[12:13] op_sel:[0,1]
	s_andn2_b64 exec, exec, s[4:5]
	s_cbranch_execnz .LBB1_138
.LBB1_139:
	s_or_b64 exec, exec, s[12:13]
.LBB1_140:
	s_getpc_b64 s[6:7]
	s_add_u32 s6, s6, .str.2@rel32@lo+4
	s_addc_u32 s7, s7, .str.2@rel32@hi+12
	s_cmp_lg_u64 s[6:7], 0
	s_cbranch_scc0 .LBB1_224
; %bb.141:
	s_getpc_b64 s[4:5]
	s_add_u32 s4, s4, .str.2@rel32@lo+80
	s_addc_u32 s5, s5, .str.2@rel32@hi+88
	s_sub_i32 s12, s4, s6
	s_ashr_i32 s13, s12, 31
	s_waitcnt vmcnt(0)
	v_and_b32_e32 v2, 2, v0
	v_mov_b32_e32 v33, 0
	v_and_b32_e32 v6, -3, v0
	v_mov_b32_e32 v7, v1
	v_mov_b32_e32 v10, 2
	;; [unrolled: 1-line block ×3, first 2 shown]
	s_branch .LBB1_143
.LBB1_142:                              ;   in Loop: Header=BB1_143 Depth=1
	s_or_b64 exec, exec, s[18:19]
	s_sub_u32 s12, s12, s14
	s_subb_u32 s13, s13, s15
	s_add_u32 s6, s6, s14
	s_addc_u32 s7, s7, s15
	s_cmp_lg_u64 s[12:13], 0
	s_cbranch_scc0 .LBB1_225
.LBB1_143:                              ; =>This Loop Header: Depth=1
                                        ;     Child Loop BB1_146 Depth 2
                                        ;     Child Loop BB1_153 Depth 2
	;; [unrolled: 1-line block ×11, first 2 shown]
	v_cmp_lt_u64_e64 s[4:5], s[12:13], 56
	s_and_b64 s[4:5], s[4:5], exec
	v_cmp_gt_u64_e64 s[4:5], s[12:13], 7
	s_cselect_b32 s15, s13, 0
	s_cselect_b32 s14, s12, 56
	s_and_b64 vcc, exec, s[4:5]
	s_cbranch_vccnz .LBB1_148
; %bb.144:                              ;   in Loop: Header=BB1_143 Depth=1
	s_mov_b64 s[4:5], 0
	s_cmp_eq_u64 s[12:13], 0
	v_pk_mov_b32 v[14:15], 0, 0
	s_cbranch_scc1 .LBB1_147
; %bb.145:                              ;   in Loop: Header=BB1_143 Depth=1
	s_lshl_b64 s[16:17], s[14:15], 3
	s_mov_b64 s[18:19], 0
	v_pk_mov_b32 v[14:15], 0, 0
	s_mov_b64 s[20:21], s[6:7]
.LBB1_146:                              ;   Parent Loop BB1_143 Depth=1
                                        ; =>  This Inner Loop Header: Depth=2
	global_load_ubyte v3, v33, s[20:21]
	s_waitcnt vmcnt(0)
	v_and_b32_e32 v32, 0xffff, v3
	v_lshlrev_b64 v[8:9], s18, v[32:33]
	s_add_u32 s18, s18, 8
	s_addc_u32 s19, s19, 0
	s_add_u32 s20, s20, 1
	s_addc_u32 s21, s21, 0
	v_or_b32_e32 v14, v8, v14
	s_cmp_lg_u32 s16, s18
	v_or_b32_e32 v15, v9, v15
	s_cbranch_scc1 .LBB1_146
.LBB1_147:                              ;   in Loop: Header=BB1_143 Depth=1
	s_mov_b32 s20, 0
	s_andn2_b64 vcc, exec, s[4:5]
	s_mov_b64 s[4:5], s[6:7]
	s_cbranch_vccz .LBB1_149
	s_branch .LBB1_150
.LBB1_148:                              ;   in Loop: Header=BB1_143 Depth=1
                                        ; implicit-def: $vgpr14_vgpr15
                                        ; implicit-def: $sgpr20
	s_mov_b64 s[4:5], s[6:7]
.LBB1_149:                              ;   in Loop: Header=BB1_143 Depth=1
	global_load_dwordx2 v[14:15], v33, s[6:7]
	s_add_i32 s20, s14, -8
	s_add_u32 s4, s6, 8
	s_addc_u32 s5, s7, 0
.LBB1_150:                              ;   in Loop: Header=BB1_143 Depth=1
	s_cmp_gt_u32 s20, 7
	s_cbranch_scc1 .LBB1_154
; %bb.151:                              ;   in Loop: Header=BB1_143 Depth=1
	s_cmp_eq_u32 s20, 0
	s_cbranch_scc1 .LBB1_155
; %bb.152:                              ;   in Loop: Header=BB1_143 Depth=1
	s_mov_b64 s[16:17], 0
	v_pk_mov_b32 v[16:17], 0, 0
	s_mov_b64 s[18:19], 0
.LBB1_153:                              ;   Parent Loop BB1_143 Depth=1
                                        ; =>  This Inner Loop Header: Depth=2
	s_add_u32 s22, s4, s18
	s_addc_u32 s23, s5, s19
	global_load_ubyte v3, v33, s[22:23]
	s_add_u32 s18, s18, 1
	s_addc_u32 s19, s19, 0
	s_waitcnt vmcnt(0)
	v_and_b32_e32 v32, 0xffff, v3
	v_lshlrev_b64 v[8:9], s16, v[32:33]
	s_add_u32 s16, s16, 8
	s_addc_u32 s17, s17, 0
	v_or_b32_e32 v16, v8, v16
	s_cmp_lg_u32 s20, s18
	v_or_b32_e32 v17, v9, v17
	s_cbranch_scc1 .LBB1_153
	s_branch .LBB1_156
.LBB1_154:                              ;   in Loop: Header=BB1_143 Depth=1
                                        ; implicit-def: $vgpr16_vgpr17
                                        ; implicit-def: $sgpr21
	s_branch .LBB1_157
.LBB1_155:                              ;   in Loop: Header=BB1_143 Depth=1
	v_pk_mov_b32 v[16:17], 0, 0
.LBB1_156:                              ;   in Loop: Header=BB1_143 Depth=1
	s_mov_b32 s21, 0
	s_cbranch_execnz .LBB1_158
.LBB1_157:                              ;   in Loop: Header=BB1_143 Depth=1
	global_load_dwordx2 v[16:17], v33, s[4:5]
	s_add_i32 s21, s20, -8
	s_add_u32 s4, s4, 8
	s_addc_u32 s5, s5, 0
.LBB1_158:                              ;   in Loop: Header=BB1_143 Depth=1
	s_cmp_gt_u32 s21, 7
	s_cbranch_scc1 .LBB1_162
; %bb.159:                              ;   in Loop: Header=BB1_143 Depth=1
	s_cmp_eq_u32 s21, 0
	s_cbranch_scc1 .LBB1_163
; %bb.160:                              ;   in Loop: Header=BB1_143 Depth=1
	s_mov_b64 s[16:17], 0
	v_pk_mov_b32 v[18:19], 0, 0
	s_mov_b64 s[18:19], 0
.LBB1_161:                              ;   Parent Loop BB1_143 Depth=1
                                        ; =>  This Inner Loop Header: Depth=2
	s_add_u32 s22, s4, s18
	s_addc_u32 s23, s5, s19
	global_load_ubyte v3, v33, s[22:23]
	s_add_u32 s18, s18, 1
	s_addc_u32 s19, s19, 0
	s_waitcnt vmcnt(0)
	v_and_b32_e32 v32, 0xffff, v3
	v_lshlrev_b64 v[8:9], s16, v[32:33]
	s_add_u32 s16, s16, 8
	s_addc_u32 s17, s17, 0
	v_or_b32_e32 v18, v8, v18
	s_cmp_lg_u32 s21, s18
	v_or_b32_e32 v19, v9, v19
	s_cbranch_scc1 .LBB1_161
	s_branch .LBB1_164
.LBB1_162:                              ;   in Loop: Header=BB1_143 Depth=1
                                        ; implicit-def: $sgpr20
	s_branch .LBB1_165
.LBB1_163:                              ;   in Loop: Header=BB1_143 Depth=1
	v_pk_mov_b32 v[18:19], 0, 0
.LBB1_164:                              ;   in Loop: Header=BB1_143 Depth=1
	s_mov_b32 s20, 0
	s_cbranch_execnz .LBB1_166
.LBB1_165:                              ;   in Loop: Header=BB1_143 Depth=1
	global_load_dwordx2 v[18:19], v33, s[4:5]
	s_add_i32 s20, s21, -8
	s_add_u32 s4, s4, 8
	s_addc_u32 s5, s5, 0
.LBB1_166:                              ;   in Loop: Header=BB1_143 Depth=1
	s_cmp_gt_u32 s20, 7
	s_cbranch_scc1 .LBB1_170
; %bb.167:                              ;   in Loop: Header=BB1_143 Depth=1
	s_cmp_eq_u32 s20, 0
	s_cbranch_scc1 .LBB1_171
; %bb.168:                              ;   in Loop: Header=BB1_143 Depth=1
	s_mov_b64 s[16:17], 0
	v_pk_mov_b32 v[20:21], 0, 0
	s_mov_b64 s[18:19], 0
.LBB1_169:                              ;   Parent Loop BB1_143 Depth=1
                                        ; =>  This Inner Loop Header: Depth=2
	s_add_u32 s22, s4, s18
	s_addc_u32 s23, s5, s19
	global_load_ubyte v3, v33, s[22:23]
	s_add_u32 s18, s18, 1
	s_addc_u32 s19, s19, 0
	s_waitcnt vmcnt(0)
	v_and_b32_e32 v32, 0xffff, v3
	v_lshlrev_b64 v[8:9], s16, v[32:33]
	s_add_u32 s16, s16, 8
	s_addc_u32 s17, s17, 0
	v_or_b32_e32 v20, v8, v20
	s_cmp_lg_u32 s20, s18
	v_or_b32_e32 v21, v9, v21
	s_cbranch_scc1 .LBB1_169
	s_branch .LBB1_172
.LBB1_170:                              ;   in Loop: Header=BB1_143 Depth=1
                                        ; implicit-def: $vgpr20_vgpr21
                                        ; implicit-def: $sgpr21
	s_branch .LBB1_173
.LBB1_171:                              ;   in Loop: Header=BB1_143 Depth=1
	v_pk_mov_b32 v[20:21], 0, 0
.LBB1_172:                              ;   in Loop: Header=BB1_143 Depth=1
	s_mov_b32 s21, 0
	s_cbranch_execnz .LBB1_174
.LBB1_173:                              ;   in Loop: Header=BB1_143 Depth=1
	global_load_dwordx2 v[20:21], v33, s[4:5]
	s_add_i32 s21, s20, -8
	s_add_u32 s4, s4, 8
	s_addc_u32 s5, s5, 0
.LBB1_174:                              ;   in Loop: Header=BB1_143 Depth=1
	s_cmp_gt_u32 s21, 7
	s_cbranch_scc1 .LBB1_178
; %bb.175:                              ;   in Loop: Header=BB1_143 Depth=1
	s_cmp_eq_u32 s21, 0
	s_cbranch_scc1 .LBB1_179
; %bb.176:                              ;   in Loop: Header=BB1_143 Depth=1
	s_mov_b64 s[16:17], 0
	v_pk_mov_b32 v[22:23], 0, 0
	s_mov_b64 s[18:19], 0
.LBB1_177:                              ;   Parent Loop BB1_143 Depth=1
                                        ; =>  This Inner Loop Header: Depth=2
	s_add_u32 s22, s4, s18
	s_addc_u32 s23, s5, s19
	global_load_ubyte v3, v33, s[22:23]
	s_add_u32 s18, s18, 1
	s_addc_u32 s19, s19, 0
	s_waitcnt vmcnt(0)
	v_and_b32_e32 v32, 0xffff, v3
	v_lshlrev_b64 v[8:9], s16, v[32:33]
	s_add_u32 s16, s16, 8
	s_addc_u32 s17, s17, 0
	v_or_b32_e32 v22, v8, v22
	s_cmp_lg_u32 s21, s18
	v_or_b32_e32 v23, v9, v23
	s_cbranch_scc1 .LBB1_177
	s_branch .LBB1_180
.LBB1_178:                              ;   in Loop: Header=BB1_143 Depth=1
                                        ; implicit-def: $sgpr20
	s_branch .LBB1_181
.LBB1_179:                              ;   in Loop: Header=BB1_143 Depth=1
	v_pk_mov_b32 v[22:23], 0, 0
.LBB1_180:                              ;   in Loop: Header=BB1_143 Depth=1
	s_mov_b32 s20, 0
	s_cbranch_execnz .LBB1_182
.LBB1_181:                              ;   in Loop: Header=BB1_143 Depth=1
	global_load_dwordx2 v[22:23], v33, s[4:5]
	s_add_i32 s20, s21, -8
	s_add_u32 s4, s4, 8
	s_addc_u32 s5, s5, 0
.LBB1_182:                              ;   in Loop: Header=BB1_143 Depth=1
	s_cmp_gt_u32 s20, 7
	s_cbranch_scc1 .LBB1_186
; %bb.183:                              ;   in Loop: Header=BB1_143 Depth=1
	s_cmp_eq_u32 s20, 0
	s_cbranch_scc1 .LBB1_187
; %bb.184:                              ;   in Loop: Header=BB1_143 Depth=1
	s_mov_b64 s[16:17], 0
	v_pk_mov_b32 v[24:25], 0, 0
	s_mov_b64 s[18:19], 0
.LBB1_185:                              ;   Parent Loop BB1_143 Depth=1
                                        ; =>  This Inner Loop Header: Depth=2
	s_add_u32 s22, s4, s18
	s_addc_u32 s23, s5, s19
	global_load_ubyte v3, v33, s[22:23]
	s_add_u32 s18, s18, 1
	s_addc_u32 s19, s19, 0
	s_waitcnt vmcnt(0)
	v_and_b32_e32 v32, 0xffff, v3
	v_lshlrev_b64 v[8:9], s16, v[32:33]
	s_add_u32 s16, s16, 8
	s_addc_u32 s17, s17, 0
	v_or_b32_e32 v24, v8, v24
	s_cmp_lg_u32 s20, s18
	v_or_b32_e32 v25, v9, v25
	s_cbranch_scc1 .LBB1_185
	s_branch .LBB1_188
.LBB1_186:                              ;   in Loop: Header=BB1_143 Depth=1
                                        ; implicit-def: $vgpr24_vgpr25
                                        ; implicit-def: $sgpr21
	s_branch .LBB1_189
.LBB1_187:                              ;   in Loop: Header=BB1_143 Depth=1
	v_pk_mov_b32 v[24:25], 0, 0
.LBB1_188:                              ;   in Loop: Header=BB1_143 Depth=1
	s_mov_b32 s21, 0
	s_cbranch_execnz .LBB1_190
.LBB1_189:                              ;   in Loop: Header=BB1_143 Depth=1
	global_load_dwordx2 v[24:25], v33, s[4:5]
	s_add_i32 s21, s20, -8
	s_add_u32 s4, s4, 8
	s_addc_u32 s5, s5, 0
.LBB1_190:                              ;   in Loop: Header=BB1_143 Depth=1
	s_cmp_gt_u32 s21, 7
	s_cbranch_scc1 .LBB1_194
; %bb.191:                              ;   in Loop: Header=BB1_143 Depth=1
	s_cmp_eq_u32 s21, 0
	s_cbranch_scc1 .LBB1_195
; %bb.192:                              ;   in Loop: Header=BB1_143 Depth=1
	s_mov_b64 s[16:17], 0
	v_pk_mov_b32 v[26:27], 0, 0
	s_mov_b64 s[18:19], s[4:5]
.LBB1_193:                              ;   Parent Loop BB1_143 Depth=1
                                        ; =>  This Inner Loop Header: Depth=2
	global_load_ubyte v3, v33, s[18:19]
	s_add_i32 s21, s21, -1
	s_waitcnt vmcnt(0)
	v_and_b32_e32 v32, 0xffff, v3
	v_lshlrev_b64 v[8:9], s16, v[32:33]
	s_add_u32 s16, s16, 8
	s_addc_u32 s17, s17, 0
	s_add_u32 s18, s18, 1
	s_addc_u32 s19, s19, 0
	v_or_b32_e32 v26, v8, v26
	s_cmp_lg_u32 s21, 0
	v_or_b32_e32 v27, v9, v27
	s_cbranch_scc1 .LBB1_193
	s_branch .LBB1_196
.LBB1_194:                              ;   in Loop: Header=BB1_143 Depth=1
	s_branch .LBB1_197
.LBB1_195:                              ;   in Loop: Header=BB1_143 Depth=1
	v_pk_mov_b32 v[26:27], 0, 0
.LBB1_196:                              ;   in Loop: Header=BB1_143 Depth=1
	s_cbranch_execnz .LBB1_198
.LBB1_197:                              ;   in Loop: Header=BB1_143 Depth=1
	global_load_dwordx2 v[26:27], v33, s[4:5]
.LBB1_198:                              ;   in Loop: Header=BB1_143 Depth=1
	v_readfirstlane_b32 s4, v37
	v_cmp_eq_u32_e64 s[4:5], s4, v37
	s_waitcnt vmcnt(0)
	v_pk_mov_b32 v[8:9], 0, 0
	s_and_saveexec_b64 s[16:17], s[4:5]
	s_cbranch_execz .LBB1_204
; %bb.199:                              ;   in Loop: Header=BB1_143 Depth=1
	global_load_dwordx2 v[30:31], v33, s[10:11] offset:24 glc
	s_waitcnt vmcnt(0)
	buffer_invl2
	buffer_wbinvl1_vol
	global_load_dwordx2 v[8:9], v33, s[10:11] offset:40
	global_load_dwordx2 v[12:13], v33, s[10:11]
	s_waitcnt vmcnt(1)
	v_and_b32_e32 v3, v8, v30
	v_and_b32_e32 v8, v9, v31
	v_mul_lo_u32 v8, v8, 24
	v_mul_hi_u32 v9, v3, 24
	v_mul_lo_u32 v3, v3, 24
	v_add_u32_e32 v9, v9, v8
	s_waitcnt vmcnt(0)
	v_add_co_u32_e32 v8, vcc, v12, v3
	v_addc_co_u32_e32 v9, vcc, v13, v9, vcc
	global_load_dwordx2 v[28:29], v[8:9], off glc
	s_waitcnt vmcnt(0)
	global_atomic_cmpswap_x2 v[8:9], v33, v[28:31], s[10:11] offset:24 glc
	s_waitcnt vmcnt(0)
	buffer_invl2
	buffer_wbinvl1_vol
	v_cmp_ne_u64_e32 vcc, v[8:9], v[30:31]
	s_and_saveexec_b64 s[18:19], vcc
	s_cbranch_execz .LBB1_203
; %bb.200:                              ;   in Loop: Header=BB1_143 Depth=1
	s_mov_b64 s[20:21], 0
.LBB1_201:                              ;   Parent Loop BB1_143 Depth=1
                                        ; =>  This Inner Loop Header: Depth=2
	s_sleep 1
	global_load_dwordx2 v[12:13], v33, s[10:11] offset:40
	global_load_dwordx2 v[28:29], v33, s[10:11]
	v_pk_mov_b32 v[30:31], v[8:9], v[8:9] op_sel:[0,1]
	s_waitcnt vmcnt(1)
	v_and_b32_e32 v8, v12, v30
	s_waitcnt vmcnt(0)
	v_mad_u64_u32 v[8:9], s[22:23], v8, 24, v[28:29]
	v_and_b32_e32 v3, v13, v31
	v_mov_b32_e32 v12, v9
	v_mad_u64_u32 v[12:13], s[22:23], v3, 24, v[12:13]
	v_mov_b32_e32 v9, v12
	global_load_dwordx2 v[28:29], v[8:9], off glc
	s_waitcnt vmcnt(0)
	global_atomic_cmpswap_x2 v[8:9], v33, v[28:31], s[10:11] offset:24 glc
	s_waitcnt vmcnt(0)
	buffer_invl2
	buffer_wbinvl1_vol
	v_cmp_eq_u64_e32 vcc, v[8:9], v[30:31]
	s_or_b64 s[20:21], vcc, s[20:21]
	s_andn2_b64 exec, exec, s[20:21]
	s_cbranch_execnz .LBB1_201
; %bb.202:                              ;   in Loop: Header=BB1_143 Depth=1
	s_or_b64 exec, exec, s[20:21]
.LBB1_203:                              ;   in Loop: Header=BB1_143 Depth=1
	s_or_b64 exec, exec, s[18:19]
.LBB1_204:                              ;   in Loop: Header=BB1_143 Depth=1
	s_or_b64 exec, exec, s[16:17]
	global_load_dwordx2 v[12:13], v33, s[10:11] offset:40
	global_load_dwordx4 v[28:31], v33, s[10:11]
	v_readfirstlane_b32 s16, v8
	v_readfirstlane_b32 s17, v9
	s_mov_b64 s[18:19], exec
	s_waitcnt vmcnt(1)
	v_readfirstlane_b32 s20, v12
	v_readfirstlane_b32 s21, v13
	s_and_b64 s[20:21], s[16:17], s[20:21]
	s_mul_i32 s22, s21, 24
	s_mul_hi_u32 s23, s20, 24
	s_mul_i32 s24, s20, 24
	s_add_i32 s22, s23, s22
	v_mov_b32_e32 v3, s22
	s_waitcnt vmcnt(0)
	v_add_co_u32_e32 v34, vcc, s24, v28
	v_addc_co_u32_e32 v35, vcc, v29, v3, vcc
	s_and_saveexec_b64 s[22:23], s[4:5]
	s_cbranch_execz .LBB1_206
; %bb.205:                              ;   in Loop: Header=BB1_143 Depth=1
	v_pk_mov_b32 v[8:9], s[18:19], s[18:19] op_sel:[0,1]
	global_store_dwordx4 v[34:35], v[8:11], off offset:8
.LBB1_206:                              ;   in Loop: Header=BB1_143 Depth=1
	s_or_b64 exec, exec, s[22:23]
	s_lshl_b64 s[18:19], s[20:21], 12
	v_mov_b32_e32 v3, s19
	v_add_co_u32_e32 v30, vcc, s18, v30
	v_addc_co_u32_e32 v3, vcc, v31, v3, vcc
	v_or_b32_e32 v9, v6, v2
	v_cmp_gt_u64_e64 vcc, s[12:13], 56
	s_lshl_b32 s18, s14, 2
	v_cndmask_b32_e32 v6, v9, v6, vcc
	s_add_i32 s18, s18, 28
	v_or_b32_e32 v8, 0, v7
	s_and_b32 s18, s18, 0x1e0
	v_and_b32_e32 v6, 0xffffff1f, v6
	v_cndmask_b32_e32 v13, v8, v7, vcc
	v_or_b32_e32 v12, s18, v6
	v_readfirstlane_b32 s18, v30
	v_readfirstlane_b32 s19, v3
	s_nop 4
	global_store_dwordx4 v36, v[12:15], s[18:19]
	global_store_dwordx4 v36, v[16:19], s[18:19] offset:16
	global_store_dwordx4 v36, v[20:23], s[18:19] offset:32
	global_store_dwordx4 v36, v[24:27], s[18:19] offset:48
	s_and_saveexec_b64 s[18:19], s[4:5]
	s_cbranch_execz .LBB1_214
; %bb.207:                              ;   in Loop: Header=BB1_143 Depth=1
	global_load_dwordx2 v[16:17], v33, s[10:11] offset:32 glc
	global_load_dwordx2 v[6:7], v33, s[10:11] offset:40
	v_mov_b32_e32 v14, s16
	v_mov_b32_e32 v15, s17
	s_waitcnt vmcnt(0)
	v_readfirstlane_b32 s20, v6
	v_readfirstlane_b32 s21, v7
	s_and_b64 s[20:21], s[20:21], s[16:17]
	s_mul_i32 s21, s21, 24
	s_mul_hi_u32 s22, s20, 24
	s_mul_i32 s20, s20, 24
	s_add_i32 s21, s22, s21
	v_mov_b32_e32 v6, s21
	v_add_co_u32_e32 v12, vcc, s20, v28
	v_addc_co_u32_e32 v13, vcc, v29, v6, vcc
	global_store_dwordx2 v[12:13], v[16:17], off
	buffer_wbl2
	s_waitcnt vmcnt(0)
	global_atomic_cmpswap_x2 v[8:9], v33, v[14:17], s[10:11] offset:32 glc
	s_waitcnt vmcnt(0)
	v_cmp_ne_u64_e32 vcc, v[8:9], v[16:17]
	s_and_saveexec_b64 s[20:21], vcc
	s_cbranch_execz .LBB1_210
; %bb.208:                              ;   in Loop: Header=BB1_143 Depth=1
	s_mov_b64 s[22:23], 0
.LBB1_209:                              ;   Parent Loop BB1_143 Depth=1
                                        ; =>  This Inner Loop Header: Depth=2
	s_sleep 1
	global_store_dwordx2 v[12:13], v[8:9], off
	v_mov_b32_e32 v6, s16
	v_mov_b32_e32 v7, s17
	buffer_wbl2
	s_waitcnt vmcnt(0)
	global_atomic_cmpswap_x2 v[6:7], v33, v[6:9], s[10:11] offset:32 glc
	s_waitcnt vmcnt(0)
	v_cmp_eq_u64_e32 vcc, v[6:7], v[8:9]
	s_or_b64 s[22:23], vcc, s[22:23]
	v_pk_mov_b32 v[8:9], v[6:7], v[6:7] op_sel:[0,1]
	s_andn2_b64 exec, exec, s[22:23]
	s_cbranch_execnz .LBB1_209
.LBB1_210:                              ;   in Loop: Header=BB1_143 Depth=1
	s_or_b64 exec, exec, s[20:21]
	global_load_dwordx2 v[6:7], v33, s[10:11] offset:16
	s_mov_b64 s[22:23], exec
	v_mbcnt_lo_u32_b32 v8, s22, 0
	v_mbcnt_hi_u32_b32 v8, s23, v8
	v_cmp_eq_u32_e32 vcc, 0, v8
	s_and_saveexec_b64 s[20:21], vcc
	s_cbranch_execz .LBB1_212
; %bb.211:                              ;   in Loop: Header=BB1_143 Depth=1
	s_bcnt1_i32_b64 s22, s[22:23]
	v_mov_b32_e32 v32, s22
	buffer_wbl2
	s_waitcnt vmcnt(0)
	global_atomic_add_x2 v[6:7], v[32:33], off offset:8
.LBB1_212:                              ;   in Loop: Header=BB1_143 Depth=1
	s_or_b64 exec, exec, s[20:21]
	s_waitcnt vmcnt(0)
	global_load_dwordx2 v[8:9], v[6:7], off offset:16
	s_waitcnt vmcnt(0)
	v_cmp_eq_u64_e32 vcc, 0, v[8:9]
	s_cbranch_vccnz .LBB1_214
; %bb.213:                              ;   in Loop: Header=BB1_143 Depth=1
	global_load_dword v32, v[6:7], off offset:24
	s_waitcnt vmcnt(0)
	v_and_b32_e32 v6, 0xffffff, v32
	v_readfirstlane_b32 m0, v6
	buffer_wbl2
	global_store_dwordx2 v[8:9], v[32:33], off
	s_sendmsg sendmsg(MSG_INTERRUPT)
.LBB1_214:                              ;   in Loop: Header=BB1_143 Depth=1
	s_or_b64 exec, exec, s[18:19]
	v_add_co_u32_e32 v6, vcc, v30, v36
	v_addc_co_u32_e32 v7, vcc, 0, v3, vcc
	s_branch .LBB1_218
.LBB1_215:                              ;   in Loop: Header=BB1_218 Depth=2
	s_or_b64 exec, exec, s[18:19]
	v_readfirstlane_b32 s18, v3
	s_cmp_eq_u32 s18, 0
	s_cbranch_scc1 .LBB1_217
; %bb.216:                              ;   in Loop: Header=BB1_218 Depth=2
	s_sleep 1
	s_cbranch_execnz .LBB1_218
	s_branch .LBB1_220
.LBB1_217:                              ;   in Loop: Header=BB1_143 Depth=1
	s_branch .LBB1_220
.LBB1_218:                              ;   Parent Loop BB1_143 Depth=1
                                        ; =>  This Inner Loop Header: Depth=2
	v_mov_b32_e32 v3, 1
	s_and_saveexec_b64 s[18:19], s[4:5]
	s_cbranch_execz .LBB1_215
; %bb.219:                              ;   in Loop: Header=BB1_218 Depth=2
	global_load_dword v3, v[34:35], off offset:20 glc
	s_waitcnt vmcnt(0)
	buffer_invl2
	buffer_wbinvl1_vol
	v_and_b32_e32 v3, 1, v3
	s_branch .LBB1_215
.LBB1_220:                              ;   in Loop: Header=BB1_143 Depth=1
	global_load_dwordx4 v[6:9], v[6:7], off
	s_and_saveexec_b64 s[18:19], s[4:5]
	s_cbranch_execz .LBB1_142
; %bb.221:                              ;   in Loop: Header=BB1_143 Depth=1
	global_load_dwordx2 v[8:9], v33, s[10:11] offset:40
	global_load_dwordx2 v[16:17], v33, s[10:11] offset:24 glc
	global_load_dwordx2 v[18:19], v33, s[10:11]
	v_mov_b32_e32 v3, s17
	s_waitcnt vmcnt(2)
	v_add_co_u32_e32 v15, vcc, 1, v8
	v_addc_co_u32_e32 v20, vcc, 0, v9, vcc
	v_add_co_u32_e32 v12, vcc, s16, v15
	v_addc_co_u32_e32 v13, vcc, v20, v3, vcc
	v_cmp_eq_u64_e32 vcc, 0, v[12:13]
	v_cndmask_b32_e32 v13, v13, v20, vcc
	v_cndmask_b32_e32 v12, v12, v15, vcc
	v_and_b32_e32 v3, v13, v9
	v_and_b32_e32 v8, v12, v8
	v_mul_lo_u32 v3, v3, 24
	v_mul_hi_u32 v9, v8, 24
	v_mul_lo_u32 v8, v8, 24
	v_add_u32_e32 v3, v9, v3
	s_waitcnt vmcnt(0)
	v_add_co_u32_e32 v8, vcc, v18, v8
	v_addc_co_u32_e32 v9, vcc, v19, v3, vcc
	v_mov_b32_e32 v14, v16
	global_store_dwordx2 v[8:9], v[16:17], off
	v_mov_b32_e32 v15, v17
	buffer_wbl2
	s_waitcnt vmcnt(0)
	global_atomic_cmpswap_x2 v[14:15], v33, v[12:15], s[10:11] offset:24 glc
	s_waitcnt vmcnt(0)
	v_cmp_ne_u64_e32 vcc, v[14:15], v[16:17]
	s_and_b64 exec, exec, vcc
	s_cbranch_execz .LBB1_142
; %bb.222:                              ;   in Loop: Header=BB1_143 Depth=1
	s_mov_b64 s[4:5], 0
.LBB1_223:                              ;   Parent Loop BB1_143 Depth=1
                                        ; =>  This Inner Loop Header: Depth=2
	s_sleep 1
	global_store_dwordx2 v[8:9], v[14:15], off
	buffer_wbl2
	s_waitcnt vmcnt(0)
	global_atomic_cmpswap_x2 v[16:17], v33, v[12:15], s[10:11] offset:24 glc
	s_waitcnt vmcnt(0)
	v_cmp_eq_u64_e32 vcc, v[16:17], v[14:15]
	s_or_b64 s[4:5], vcc, s[4:5]
	v_pk_mov_b32 v[14:15], v[16:17], v[16:17] op_sel:[0,1]
	s_andn2_b64 exec, exec, s[4:5]
	s_cbranch_execnz .LBB1_223
	s_branch .LBB1_142
.LBB1_224:
                                        ; implicit-def: $vgpr6_vgpr7
	s_cbranch_execnz .LBB1_226
	s_branch .LBB1_252
.LBB1_225:
	s_branch .LBB1_252
.LBB1_226:
	v_readfirstlane_b32 s4, v37
	v_cmp_eq_u32_e64 s[4:5], s4, v37
	v_pk_mov_b32 v[10:11], 0, 0
	s_and_saveexec_b64 s[6:7], s[4:5]
	s_cbranch_execz .LBB1_232
; %bb.227:
	s_waitcnt vmcnt(0)
	v_mov_b32_e32 v2, 0
	global_load_dwordx2 v[8:9], v2, s[10:11] offset:24 glc
	s_waitcnt vmcnt(0)
	buffer_invl2
	buffer_wbinvl1_vol
	global_load_dwordx2 v[6:7], v2, s[10:11] offset:40
	global_load_dwordx2 v[10:11], v2, s[10:11]
	s_waitcnt vmcnt(1)
	v_and_b32_e32 v3, v6, v8
	v_and_b32_e32 v6, v7, v9
	v_mul_lo_u32 v6, v6, 24
	v_mul_hi_u32 v7, v3, 24
	v_mul_lo_u32 v3, v3, 24
	v_add_u32_e32 v7, v7, v6
	s_waitcnt vmcnt(0)
	v_add_co_u32_e32 v6, vcc, v10, v3
	v_addc_co_u32_e32 v7, vcc, v11, v7, vcc
	global_load_dwordx2 v[6:7], v[6:7], off glc
	s_waitcnt vmcnt(0)
	global_atomic_cmpswap_x2 v[10:11], v2, v[6:9], s[10:11] offset:24 glc
	s_waitcnt vmcnt(0)
	buffer_invl2
	buffer_wbinvl1_vol
	v_cmp_ne_u64_e32 vcc, v[10:11], v[8:9]
	s_and_saveexec_b64 s[12:13], vcc
	s_cbranch_execz .LBB1_231
; %bb.228:
	s_mov_b64 s[14:15], 0
.LBB1_229:                              ; =>This Inner Loop Header: Depth=1
	s_sleep 1
	global_load_dwordx2 v[6:7], v2, s[10:11] offset:40
	global_load_dwordx2 v[12:13], v2, s[10:11]
	v_pk_mov_b32 v[8:9], v[10:11], v[10:11] op_sel:[0,1]
	s_waitcnt vmcnt(1)
	v_and_b32_e32 v6, v6, v8
	v_and_b32_e32 v3, v7, v9
	s_waitcnt vmcnt(0)
	v_mad_u64_u32 v[6:7], s[16:17], v6, 24, v[12:13]
	v_mov_b32_e32 v10, v7
	v_mad_u64_u32 v[10:11], s[16:17], v3, 24, v[10:11]
	v_mov_b32_e32 v7, v10
	global_load_dwordx2 v[6:7], v[6:7], off glc
	s_waitcnt vmcnt(0)
	global_atomic_cmpswap_x2 v[10:11], v2, v[6:9], s[10:11] offset:24 glc
	s_waitcnt vmcnt(0)
	buffer_invl2
	buffer_wbinvl1_vol
	v_cmp_eq_u64_e32 vcc, v[10:11], v[8:9]
	s_or_b64 s[14:15], vcc, s[14:15]
	s_andn2_b64 exec, exec, s[14:15]
	s_cbranch_execnz .LBB1_229
; %bb.230:
	s_or_b64 exec, exec, s[14:15]
.LBB1_231:
	s_or_b64 exec, exec, s[12:13]
.LBB1_232:
	s_or_b64 exec, exec, s[6:7]
	s_waitcnt vmcnt(0)
	v_mov_b32_e32 v2, 0
	global_load_dwordx2 v[12:13], v2, s[10:11] offset:40
	global_load_dwordx4 v[6:9], v2, s[10:11]
	v_readfirstlane_b32 s6, v10
	v_readfirstlane_b32 s7, v11
	s_mov_b64 s[12:13], exec
	s_waitcnt vmcnt(1)
	v_readfirstlane_b32 s14, v12
	v_readfirstlane_b32 s15, v13
	s_and_b64 s[14:15], s[6:7], s[14:15]
	s_mul_i32 s16, s15, 24
	s_mul_hi_u32 s17, s14, 24
	s_mul_i32 s18, s14, 24
	s_add_i32 s16, s17, s16
	v_mov_b32_e32 v3, s16
	s_waitcnt vmcnt(0)
	v_add_co_u32_e32 v10, vcc, s18, v6
	v_addc_co_u32_e32 v11, vcc, v7, v3, vcc
	s_and_saveexec_b64 s[16:17], s[4:5]
	s_cbranch_execz .LBB1_234
; %bb.233:
	v_pk_mov_b32 v[12:13], s[12:13], s[12:13] op_sel:[0,1]
	v_mov_b32_e32 v14, 2
	v_mov_b32_e32 v15, 1
	global_store_dwordx4 v[10:11], v[12:15], off offset:8
.LBB1_234:
	s_or_b64 exec, exec, s[16:17]
	s_lshl_b64 s[12:13], s[14:15], 12
	v_mov_b32_e32 v3, s13
	v_add_co_u32_e32 v12, vcc, s12, v8
	s_movk_i32 s12, 0xff1f
	v_addc_co_u32_e32 v13, vcc, v9, v3, vcc
	v_and_or_b32 v0, v0, s12, 32
	s_mov_b32 s12, 0
	v_mov_b32_e32 v3, v2
	v_readfirstlane_b32 s16, v12
	v_readfirstlane_b32 s17, v13
	s_mov_b32 s13, s12
	v_add_co_u32_e32 v8, vcc, v12, v36
	s_mov_b32 s14, s12
	s_mov_b32 s15, s12
	s_nop 0
	global_store_dwordx4 v36, v[0:3], s[16:17]
	v_addc_co_u32_e32 v9, vcc, 0, v13, vcc
	v_pk_mov_b32 v[0:1], s[12:13], s[12:13] op_sel:[0,1]
	v_pk_mov_b32 v[2:3], s[14:15], s[14:15] op_sel:[0,1]
	global_store_dwordx4 v36, v[0:3], s[16:17] offset:16
	global_store_dwordx4 v36, v[0:3], s[16:17] offset:32
	;; [unrolled: 1-line block ×3, first 2 shown]
	s_and_saveexec_b64 s[12:13], s[4:5]
	s_cbranch_execz .LBB1_242
; %bb.235:
	v_mov_b32_e32 v12, 0
	global_load_dwordx2 v[16:17], v12, s[10:11] offset:32 glc
	global_load_dwordx2 v[0:1], v12, s[10:11] offset:40
	v_mov_b32_e32 v14, s6
	v_mov_b32_e32 v15, s7
	s_waitcnt vmcnt(0)
	v_readfirstlane_b32 s14, v0
	v_readfirstlane_b32 s15, v1
	s_and_b64 s[14:15], s[14:15], s[6:7]
	s_mul_i32 s15, s15, 24
	s_mul_hi_u32 s16, s14, 24
	s_mul_i32 s14, s14, 24
	s_add_i32 s15, s16, s15
	v_mov_b32_e32 v0, s15
	v_add_co_u32_e32 v6, vcc, s14, v6
	v_addc_co_u32_e32 v7, vcc, v7, v0, vcc
	global_store_dwordx2 v[6:7], v[16:17], off
	buffer_wbl2
	s_waitcnt vmcnt(0)
	global_atomic_cmpswap_x2 v[2:3], v12, v[14:17], s[10:11] offset:32 glc
	s_waitcnt vmcnt(0)
	v_cmp_ne_u64_e32 vcc, v[2:3], v[16:17]
	s_and_saveexec_b64 s[14:15], vcc
	s_cbranch_execz .LBB1_238
; %bb.236:
	s_mov_b64 s[16:17], 0
.LBB1_237:                              ; =>This Inner Loop Header: Depth=1
	s_sleep 1
	global_store_dwordx2 v[6:7], v[2:3], off
	v_mov_b32_e32 v0, s6
	v_mov_b32_e32 v1, s7
	buffer_wbl2
	s_waitcnt vmcnt(0)
	global_atomic_cmpswap_x2 v[0:1], v12, v[0:3], s[10:11] offset:32 glc
	s_waitcnt vmcnt(0)
	v_cmp_eq_u64_e32 vcc, v[0:1], v[2:3]
	s_or_b64 s[16:17], vcc, s[16:17]
	v_pk_mov_b32 v[2:3], v[0:1], v[0:1] op_sel:[0,1]
	s_andn2_b64 exec, exec, s[16:17]
	s_cbranch_execnz .LBB1_237
.LBB1_238:
	s_or_b64 exec, exec, s[14:15]
	v_mov_b32_e32 v3, 0
	global_load_dwordx2 v[0:1], v3, s[10:11] offset:16
	s_mov_b64 s[14:15], exec
	v_mbcnt_lo_u32_b32 v2, s14, 0
	v_mbcnt_hi_u32_b32 v2, s15, v2
	v_cmp_eq_u32_e32 vcc, 0, v2
	s_and_saveexec_b64 s[16:17], vcc
	s_cbranch_execz .LBB1_240
; %bb.239:
	s_bcnt1_i32_b64 s14, s[14:15]
	v_mov_b32_e32 v2, s14
	buffer_wbl2
	s_waitcnt vmcnt(0)
	global_atomic_add_x2 v[0:1], v[2:3], off offset:8
.LBB1_240:
	s_or_b64 exec, exec, s[16:17]
	s_waitcnt vmcnt(0)
	global_load_dwordx2 v[2:3], v[0:1], off offset:16
	s_waitcnt vmcnt(0)
	v_cmp_eq_u64_e32 vcc, 0, v[2:3]
	s_cbranch_vccnz .LBB1_242
; %bb.241:
	global_load_dword v0, v[0:1], off offset:24
	v_mov_b32_e32 v1, 0
	buffer_wbl2
	s_waitcnt vmcnt(0)
	global_store_dwordx2 v[2:3], v[0:1], off
	v_and_b32_e32 v0, 0xffffff, v0
	v_readfirstlane_b32 m0, v0
	s_sendmsg sendmsg(MSG_INTERRUPT)
.LBB1_242:
	s_or_b64 exec, exec, s[12:13]
	s_branch .LBB1_246
.LBB1_243:                              ;   in Loop: Header=BB1_246 Depth=1
	s_or_b64 exec, exec, s[12:13]
	v_readfirstlane_b32 s12, v0
	s_cmp_eq_u32 s12, 0
	s_cbranch_scc1 .LBB1_245
; %bb.244:                              ;   in Loop: Header=BB1_246 Depth=1
	s_sleep 1
	s_cbranch_execnz .LBB1_246
	s_branch .LBB1_248
.LBB1_245:
	s_branch .LBB1_248
.LBB1_246:                              ; =>This Inner Loop Header: Depth=1
	v_mov_b32_e32 v0, 1
	s_and_saveexec_b64 s[12:13], s[4:5]
	s_cbranch_execz .LBB1_243
; %bb.247:                              ;   in Loop: Header=BB1_246 Depth=1
	global_load_dword v0, v[10:11], off offset:20 glc
	s_waitcnt vmcnt(0)
	buffer_invl2
	buffer_wbinvl1_vol
	v_and_b32_e32 v0, 1, v0
	s_branch .LBB1_243
.LBB1_248:
	global_load_dwordx2 v[6:7], v[8:9], off
	s_and_saveexec_b64 s[12:13], s[4:5]
	s_cbranch_execz .LBB1_251
; %bb.249:
	v_mov_b32_e32 v10, 0
	global_load_dwordx2 v[8:9], v10, s[10:11] offset:40
	global_load_dwordx2 v[12:13], v10, s[10:11] offset:24 glc
	global_load_dwordx2 v[14:15], v10, s[10:11]
	v_mov_b32_e32 v1, s7
	s_mov_b64 s[4:5], 0
	s_waitcnt vmcnt(2)
	v_add_co_u32_e32 v3, vcc, 1, v8
	v_addc_co_u32_e32 v11, vcc, 0, v9, vcc
	v_add_co_u32_e32 v0, vcc, s6, v3
	v_addc_co_u32_e32 v1, vcc, v11, v1, vcc
	v_cmp_eq_u64_e32 vcc, 0, v[0:1]
	v_cndmask_b32_e32 v1, v1, v11, vcc
	v_cndmask_b32_e32 v0, v0, v3, vcc
	v_and_b32_e32 v3, v1, v9
	v_and_b32_e32 v8, v0, v8
	v_mul_lo_u32 v3, v3, 24
	v_mul_hi_u32 v9, v8, 24
	v_mul_lo_u32 v8, v8, 24
	v_add_u32_e32 v3, v9, v3
	s_waitcnt vmcnt(0)
	v_add_co_u32_e32 v8, vcc, v14, v8
	v_addc_co_u32_e32 v9, vcc, v15, v3, vcc
	v_mov_b32_e32 v2, v12
	global_store_dwordx2 v[8:9], v[12:13], off
	v_mov_b32_e32 v3, v13
	buffer_wbl2
	s_waitcnt vmcnt(0)
	global_atomic_cmpswap_x2 v[2:3], v10, v[0:3], s[10:11] offset:24 glc
	s_waitcnt vmcnt(0)
	v_cmp_ne_u64_e32 vcc, v[2:3], v[12:13]
	s_and_b64 exec, exec, vcc
	s_cbranch_execz .LBB1_251
.LBB1_250:                              ; =>This Inner Loop Header: Depth=1
	s_sleep 1
	global_store_dwordx2 v[8:9], v[2:3], off
	buffer_wbl2
	s_waitcnt vmcnt(0)
	global_atomic_cmpswap_x2 v[12:13], v10, v[0:3], s[10:11] offset:24 glc
	s_waitcnt vmcnt(0)
	v_cmp_eq_u64_e32 vcc, v[12:13], v[2:3]
	s_or_b64 s[4:5], vcc, s[4:5]
	v_pk_mov_b32 v[2:3], v[12:13], v[12:13] op_sel:[0,1]
	s_andn2_b64 exec, exec, s[4:5]
	s_cbranch_execnz .LBB1_250
.LBB1_251:
	s_or_b64 exec, exec, s[12:13]
.LBB1_252:
	v_readfirstlane_b32 s4, v37
	v_cmp_eq_u32_e64 s[4:5], s4, v37
	v_pk_mov_b32 v[10:11], 0, 0
	s_and_saveexec_b64 s[6:7], s[4:5]
	s_cbranch_execz .LBB1_258
; %bb.253:
	s_waitcnt vmcnt(0)
	v_mov_b32_e32 v0, 0
	global_load_dwordx2 v[12:13], v0, s[10:11] offset:24 glc
	s_waitcnt vmcnt(0)
	buffer_invl2
	buffer_wbinvl1_vol
	global_load_dwordx2 v[2:3], v0, s[10:11] offset:40
	global_load_dwordx2 v[8:9], v0, s[10:11]
	s_waitcnt vmcnt(1)
	v_and_b32_e32 v1, v2, v12
	v_and_b32_e32 v2, v3, v13
	v_mul_lo_u32 v2, v2, 24
	v_mul_hi_u32 v3, v1, 24
	v_mul_lo_u32 v1, v1, 24
	v_add_u32_e32 v3, v3, v2
	s_waitcnt vmcnt(0)
	v_add_co_u32_e32 v2, vcc, v8, v1
	v_addc_co_u32_e32 v3, vcc, v9, v3, vcc
	global_load_dwordx2 v[10:11], v[2:3], off glc
	s_waitcnt vmcnt(0)
	global_atomic_cmpswap_x2 v[10:11], v0, v[10:13], s[10:11] offset:24 glc
	s_waitcnt vmcnt(0)
	buffer_invl2
	buffer_wbinvl1_vol
	v_cmp_ne_u64_e32 vcc, v[10:11], v[12:13]
	s_and_saveexec_b64 s[12:13], vcc
	s_cbranch_execz .LBB1_257
; %bb.254:
	s_mov_b64 s[14:15], 0
.LBB1_255:                              ; =>This Inner Loop Header: Depth=1
	s_sleep 1
	global_load_dwordx2 v[2:3], v0, s[10:11] offset:40
	global_load_dwordx2 v[8:9], v0, s[10:11]
	v_pk_mov_b32 v[12:13], v[10:11], v[10:11] op_sel:[0,1]
	s_waitcnt vmcnt(1)
	v_and_b32_e32 v2, v2, v12
	v_and_b32_e32 v1, v3, v13
	s_waitcnt vmcnt(0)
	v_mad_u64_u32 v[2:3], s[16:17], v2, 24, v[8:9]
	v_mov_b32_e32 v8, v3
	v_mad_u64_u32 v[8:9], s[16:17], v1, 24, v[8:9]
	v_mov_b32_e32 v3, v8
	global_load_dwordx2 v[10:11], v[2:3], off glc
	s_waitcnt vmcnt(0)
	global_atomic_cmpswap_x2 v[10:11], v0, v[10:13], s[10:11] offset:24 glc
	s_waitcnt vmcnt(0)
	buffer_invl2
	buffer_wbinvl1_vol
	v_cmp_eq_u64_e32 vcc, v[10:11], v[12:13]
	s_or_b64 s[14:15], vcc, s[14:15]
	s_andn2_b64 exec, exec, s[14:15]
	s_cbranch_execnz .LBB1_255
; %bb.256:
	s_or_b64 exec, exec, s[14:15]
.LBB1_257:
	s_or_b64 exec, exec, s[12:13]
.LBB1_258:
	s_or_b64 exec, exec, s[6:7]
	s_waitcnt vmcnt(0)
	v_mov_b32_e32 v9, 0
	global_load_dwordx2 v[12:13], v9, s[10:11] offset:40
	global_load_dwordx4 v[0:3], v9, s[10:11]
	v_readfirstlane_b32 s6, v10
	v_readfirstlane_b32 s7, v11
	s_mov_b64 s[12:13], exec
	s_waitcnt vmcnt(1)
	v_readfirstlane_b32 s14, v12
	v_readfirstlane_b32 s15, v13
	s_and_b64 s[14:15], s[6:7], s[14:15]
	s_mul_i32 s16, s15, 24
	s_mul_hi_u32 s17, s14, 24
	s_mul_i32 s18, s14, 24
	s_add_i32 s16, s17, s16
	v_mov_b32_e32 v8, s16
	s_waitcnt vmcnt(0)
	v_add_co_u32_e32 v10, vcc, s18, v0
	v_addc_co_u32_e32 v11, vcc, v1, v8, vcc
	s_and_saveexec_b64 s[16:17], s[4:5]
	s_cbranch_execz .LBB1_260
; %bb.259:
	v_pk_mov_b32 v[12:13], s[12:13], s[12:13] op_sel:[0,1]
	v_mov_b32_e32 v14, 2
	v_mov_b32_e32 v15, 1
	global_store_dwordx4 v[10:11], v[12:15], off offset:8
.LBB1_260:
	s_or_b64 exec, exec, s[16:17]
	s_lshl_b64 s[12:13], s[14:15], 12
	v_mov_b32_e32 v8, s13
	v_add_co_u32_e32 v2, vcc, s12, v2
	s_movk_i32 s12, 0xff1f
	v_addc_co_u32_e32 v3, vcc, v3, v8, vcc
	v_and_or_b32 v6, v6, s12, 32
	s_mov_b32 s12, 0
	v_mov_b32_e32 v8, 0x331
	v_readfirstlane_b32 s16, v2
	v_readfirstlane_b32 s17, v3
	s_mov_b32 s13, s12
	v_add_co_u32_e32 v12, vcc, v2, v36
	s_mov_b32 s14, s12
	s_mov_b32 s15, s12
	s_nop 0
	global_store_dwordx4 v36, v[6:9], s[16:17]
	v_addc_co_u32_e32 v13, vcc, 0, v3, vcc
	v_pk_mov_b32 v[6:7], s[12:13], s[12:13] op_sel:[0,1]
	v_pk_mov_b32 v[8:9], s[14:15], s[14:15] op_sel:[0,1]
	global_store_dwordx4 v36, v[6:9], s[16:17] offset:16
	global_store_dwordx4 v36, v[6:9], s[16:17] offset:32
	;; [unrolled: 1-line block ×3, first 2 shown]
	s_and_saveexec_b64 s[12:13], s[4:5]
	s_cbranch_execz .LBB1_268
; %bb.261:
	v_mov_b32_e32 v8, 0
	global_load_dwordx2 v[16:17], v8, s[10:11] offset:32 glc
	global_load_dwordx2 v[2:3], v8, s[10:11] offset:40
	v_mov_b32_e32 v14, s6
	v_mov_b32_e32 v15, s7
	s_waitcnt vmcnt(0)
	v_readfirstlane_b32 s14, v2
	v_readfirstlane_b32 s15, v3
	s_and_b64 s[14:15], s[14:15], s[6:7]
	s_mul_i32 s15, s15, 24
	s_mul_hi_u32 s16, s14, 24
	s_mul_i32 s14, s14, 24
	s_add_i32 s15, s16, s15
	v_mov_b32_e32 v2, s15
	v_add_co_u32_e32 v6, vcc, s14, v0
	v_addc_co_u32_e32 v7, vcc, v1, v2, vcc
	global_store_dwordx2 v[6:7], v[16:17], off
	buffer_wbl2
	s_waitcnt vmcnt(0)
	global_atomic_cmpswap_x2 v[2:3], v8, v[14:17], s[10:11] offset:32 glc
	s_waitcnt vmcnt(0)
	v_cmp_ne_u64_e32 vcc, v[2:3], v[16:17]
	s_and_saveexec_b64 s[14:15], vcc
	s_cbranch_execz .LBB1_264
; %bb.262:
	s_mov_b64 s[16:17], 0
.LBB1_263:                              ; =>This Inner Loop Header: Depth=1
	s_sleep 1
	global_store_dwordx2 v[6:7], v[2:3], off
	v_mov_b32_e32 v0, s6
	v_mov_b32_e32 v1, s7
	buffer_wbl2
	s_waitcnt vmcnt(0)
	global_atomic_cmpswap_x2 v[0:1], v8, v[0:3], s[10:11] offset:32 glc
	s_waitcnt vmcnt(0)
	v_cmp_eq_u64_e32 vcc, v[0:1], v[2:3]
	s_or_b64 s[16:17], vcc, s[16:17]
	v_pk_mov_b32 v[2:3], v[0:1], v[0:1] op_sel:[0,1]
	s_andn2_b64 exec, exec, s[16:17]
	s_cbranch_execnz .LBB1_263
.LBB1_264:
	s_or_b64 exec, exec, s[14:15]
	v_mov_b32_e32 v3, 0
	global_load_dwordx2 v[0:1], v3, s[10:11] offset:16
	s_mov_b64 s[14:15], exec
	v_mbcnt_lo_u32_b32 v2, s14, 0
	v_mbcnt_hi_u32_b32 v2, s15, v2
	v_cmp_eq_u32_e32 vcc, 0, v2
	s_and_saveexec_b64 s[16:17], vcc
	s_cbranch_execz .LBB1_266
; %bb.265:
	s_bcnt1_i32_b64 s14, s[14:15]
	v_mov_b32_e32 v2, s14
	buffer_wbl2
	s_waitcnt vmcnt(0)
	global_atomic_add_x2 v[0:1], v[2:3], off offset:8
.LBB1_266:
	s_or_b64 exec, exec, s[16:17]
	s_waitcnt vmcnt(0)
	global_load_dwordx2 v[2:3], v[0:1], off offset:16
	s_waitcnt vmcnt(0)
	v_cmp_eq_u64_e32 vcc, 0, v[2:3]
	s_cbranch_vccnz .LBB1_268
; %bb.267:
	global_load_dword v0, v[0:1], off offset:24
	v_mov_b32_e32 v1, 0
	buffer_wbl2
	s_waitcnt vmcnt(0)
	global_store_dwordx2 v[2:3], v[0:1], off
	v_and_b32_e32 v0, 0xffffff, v0
	v_readfirstlane_b32 m0, v0
	s_sendmsg sendmsg(MSG_INTERRUPT)
.LBB1_268:
	s_or_b64 exec, exec, s[12:13]
	s_branch .LBB1_272
.LBB1_269:                              ;   in Loop: Header=BB1_272 Depth=1
	s_or_b64 exec, exec, s[12:13]
	v_readfirstlane_b32 s12, v0
	s_cmp_eq_u32 s12, 0
	s_cbranch_scc1 .LBB1_271
; %bb.270:                              ;   in Loop: Header=BB1_272 Depth=1
	s_sleep 1
	s_cbranch_execnz .LBB1_272
	s_branch .LBB1_274
.LBB1_271:
	s_branch .LBB1_274
.LBB1_272:                              ; =>This Inner Loop Header: Depth=1
	v_mov_b32_e32 v0, 1
	s_and_saveexec_b64 s[12:13], s[4:5]
	s_cbranch_execz .LBB1_269
; %bb.273:                              ;   in Loop: Header=BB1_272 Depth=1
	global_load_dword v0, v[10:11], off offset:20 glc
	s_waitcnt vmcnt(0)
	buffer_invl2
	buffer_wbinvl1_vol
	v_and_b32_e32 v0, 1, v0
	s_branch .LBB1_269
.LBB1_274:
	global_load_dwordx2 v[0:1], v[12:13], off
	s_and_saveexec_b64 s[12:13], s[4:5]
	s_cbranch_execz .LBB1_277
; %bb.275:
	v_mov_b32_e32 v10, 0
	global_load_dwordx2 v[2:3], v10, s[10:11] offset:40
	global_load_dwordx2 v[12:13], v10, s[10:11] offset:24 glc
	global_load_dwordx2 v[14:15], v10, s[10:11]
	v_mov_b32_e32 v7, s7
	s_mov_b64 s[4:5], 0
	s_waitcnt vmcnt(2)
	v_add_co_u32_e32 v9, vcc, 1, v2
	v_addc_co_u32_e32 v11, vcc, 0, v3, vcc
	v_add_co_u32_e32 v6, vcc, s6, v9
	v_addc_co_u32_e32 v7, vcc, v11, v7, vcc
	v_cmp_eq_u64_e32 vcc, 0, v[6:7]
	v_cndmask_b32_e32 v7, v7, v11, vcc
	v_cndmask_b32_e32 v6, v6, v9, vcc
	v_and_b32_e32 v3, v7, v3
	v_and_b32_e32 v2, v6, v2
	v_mul_lo_u32 v3, v3, 24
	v_mul_hi_u32 v9, v2, 24
	v_mul_lo_u32 v2, v2, 24
	v_add_u32_e32 v3, v9, v3
	s_waitcnt vmcnt(0)
	v_add_co_u32_e32 v2, vcc, v14, v2
	v_addc_co_u32_e32 v3, vcc, v15, v3, vcc
	v_mov_b32_e32 v8, v12
	global_store_dwordx2 v[2:3], v[12:13], off
	v_mov_b32_e32 v9, v13
	buffer_wbl2
	s_waitcnt vmcnt(0)
	global_atomic_cmpswap_x2 v[8:9], v10, v[6:9], s[10:11] offset:24 glc
	s_waitcnt vmcnt(0)
	v_cmp_ne_u64_e32 vcc, v[8:9], v[12:13]
	s_and_b64 exec, exec, vcc
	s_cbranch_execz .LBB1_277
.LBB1_276:                              ; =>This Inner Loop Header: Depth=1
	s_sleep 1
	global_store_dwordx2 v[2:3], v[8:9], off
	buffer_wbl2
	s_waitcnt vmcnt(0)
	global_atomic_cmpswap_x2 v[12:13], v10, v[6:9], s[10:11] offset:24 glc
	s_waitcnt vmcnt(0)
	v_cmp_eq_u64_e32 vcc, v[12:13], v[8:9]
	s_or_b64 s[4:5], vcc, s[4:5]
	v_pk_mov_b32 v[8:9], v[12:13], v[12:13] op_sel:[0,1]
	s_andn2_b64 exec, exec, s[4:5]
	s_cbranch_execnz .LBB1_276
.LBB1_277:
	s_or_b64 exec, exec, s[12:13]
	s_mov_b64 s[4:5], 0
	v_pk_mov_b32 v[6:7], v[4:5], v[4:5] op_sel:[0,1]
.LBB1_278:                              ; =>This Inner Loop Header: Depth=1
	flat_load_ubyte v8, v[6:7]
	v_add_co_u32_e32 v2, vcc, 1, v6
	v_addc_co_u32_e32 v3, vcc, 0, v7, vcc
	v_pk_mov_b32 v[6:7], v[2:3], v[2:3] op_sel:[0,1]
	s_waitcnt vmcnt(0) lgkmcnt(0)
	v_cmp_eq_u16_e32 vcc, 0, v8
	s_or_b64 s[4:5], vcc, s[4:5]
	s_andn2_b64 exec, exec, s[4:5]
	s_cbranch_execnz .LBB1_278
; %bb.279:
	s_or_b64 exec, exec, s[4:5]
	s_mov_b64 s[6:7], 0
	v_cmp_ne_u64_e32 vcc, 0, v[4:5]
	s_and_saveexec_b64 s[4:5], vcc
	s_xor_b64 s[12:13], exec, s[4:5]
	s_cbranch_execz .LBB1_365
; %bb.280:
	v_sub_u32_e32 v26, v2, v4
	v_ashrrev_i32_e32 v27, 31, v26
	v_and_b32_e32 v28, 2, v0
	v_mov_b32_e32 v31, 0
	v_and_b32_e32 v0, -3, v0
	s_mov_b32 s22, 0
	s_movk_i32 s23, 0xff1f
	v_mov_b32_e32 v8, 2
	v_mov_b32_e32 v9, 1
	s_branch .LBB1_282
.LBB1_281:                              ;   in Loop: Header=BB1_282 Depth=1
	s_or_b64 exec, exec, s[16:17]
	v_sub_co_u32_e32 v26, vcc, v26, v32
	v_subb_co_u32_e32 v27, vcc, v27, v33, vcc
	v_cmp_eq_u64_e32 vcc, 0, v[26:27]
	s_or_b64 s[6:7], vcc, s[6:7]
	v_add_co_u32_e32 v4, vcc, v4, v32
	v_addc_co_u32_e32 v5, vcc, v5, v33, vcc
	s_andn2_b64 exec, exec, s[6:7]
	s_cbranch_execz .LBB1_364
.LBB1_282:                              ; =>This Loop Header: Depth=1
                                        ;     Child Loop BB1_285 Depth 2
                                        ;     Child Loop BB1_293 Depth 2
                                        ;     Child Loop BB1_301 Depth 2
                                        ;     Child Loop BB1_309 Depth 2
                                        ;     Child Loop BB1_317 Depth 2
                                        ;     Child Loop BB1_325 Depth 2
                                        ;     Child Loop BB1_333 Depth 2
                                        ;     Child Loop BB1_341 Depth 2
                                        ;     Child Loop BB1_349 Depth 2
                                        ;     Child Loop BB1_358 Depth 2
                                        ;     Child Loop BB1_363 Depth 2
	v_cmp_gt_u64_e32 vcc, 56, v[26:27]
	v_cndmask_b32_e32 v33, 0, v27, vcc
	v_cndmask_b32_e32 v32, 56, v26, vcc
	v_cmp_gt_u64_e32 vcc, 8, v[26:27]
                                        ; implicit-def: $vgpr2_vgpr3
                                        ; implicit-def: $sgpr14
	s_and_saveexec_b64 s[4:5], vcc
	s_xor_b64 s[4:5], exec, s[4:5]
	s_cbranch_execz .LBB1_288
; %bb.283:                              ;   in Loop: Header=BB1_282 Depth=1
	s_mov_b64 s[16:17], 0
	v_cmp_ne_u64_e32 vcc, 0, v[26:27]
	s_waitcnt vmcnt(0)
	v_pk_mov_b32 v[2:3], 0, 0
	s_and_saveexec_b64 s[14:15], vcc
	s_cbranch_execz .LBB1_287
; %bb.284:                              ;   in Loop: Header=BB1_282 Depth=1
	v_lshlrev_b64 v[6:7], 3, v[32:33]
	v_pk_mov_b32 v[2:3], 0, 0
	v_pk_mov_b32 v[10:11], v[4:5], v[4:5] op_sel:[0,1]
	s_mov_b64 s[18:19], 0
.LBB1_285:                              ;   Parent Loop BB1_282 Depth=1
                                        ; =>  This Inner Loop Header: Depth=2
	flat_load_ubyte v7, v[10:11]
	v_mov_b32_e32 v13, s22
	v_add_co_u32_e32 v10, vcc, 1, v10
	v_addc_co_u32_e32 v11, vcc, 0, v11, vcc
	s_waitcnt vmcnt(0) lgkmcnt(0)
	v_and_b32_e32 v12, 0xffff, v7
	v_lshlrev_b64 v[12:13], s18, v[12:13]
	s_add_u32 s18, s18, 8
	s_addc_u32 s19, s19, 0
	v_cmp_eq_u32_e32 vcc, s18, v6
	v_or_b32_e32 v3, v13, v3
	s_or_b64 s[16:17], vcc, s[16:17]
	v_or_b32_e32 v2, v12, v2
	s_andn2_b64 exec, exec, s[16:17]
	s_cbranch_execnz .LBB1_285
; %bb.286:                              ;   in Loop: Header=BB1_282 Depth=1
	s_or_b64 exec, exec, s[16:17]
.LBB1_287:                              ;   in Loop: Header=BB1_282 Depth=1
	s_or_b64 exec, exec, s[14:15]
	s_mov_b32 s14, 0
.LBB1_288:                              ;   in Loop: Header=BB1_282 Depth=1
	s_or_saveexec_b64 s[4:5], s[4:5]
	v_mov_b32_e32 v12, s14
	v_pk_mov_b32 v[6:7], v[4:5], v[4:5] op_sel:[0,1]
	s_xor_b64 exec, exec, s[4:5]
	s_cbranch_execz .LBB1_290
; %bb.289:                              ;   in Loop: Header=BB1_282 Depth=1
	s_waitcnt vmcnt(0)
	flat_load_dwordx2 v[2:3], v[4:5]
	v_add_u32_e32 v12, -8, v32
	s_waitcnt vmcnt(0) lgkmcnt(0)
	v_and_b32_e32 v6, 0xff, v3
	v_and_b32_e32 v7, 0xff00, v3
	;; [unrolled: 1-line block ×4, first 2 shown]
	v_or_b32_e32 v6, v6, v7
	v_or3_b32 v3, v6, v10, v3
	v_add_co_u32_e32 v6, vcc, 8, v4
	v_or3_b32 v2, v2, 0, 0
	v_addc_co_u32_e32 v7, vcc, 0, v5, vcc
.LBB1_290:                              ;   in Loop: Header=BB1_282 Depth=1
	s_or_b64 exec, exec, s[4:5]
	v_cmp_gt_u32_e32 vcc, 8, v12
                                        ; implicit-def: $vgpr10_vgpr11
                                        ; implicit-def: $sgpr14
	s_and_saveexec_b64 s[4:5], vcc
	s_xor_b64 s[4:5], exec, s[4:5]
	s_cbranch_execz .LBB1_296
; %bb.291:                              ;   in Loop: Header=BB1_282 Depth=1
	v_cmp_ne_u32_e32 vcc, 0, v12
	v_pk_mov_b32 v[10:11], 0, 0
	s_and_saveexec_b64 s[14:15], vcc
	s_cbranch_execz .LBB1_295
; %bb.292:                              ;   in Loop: Header=BB1_282 Depth=1
	s_mov_b64 s[16:17], 0
	v_pk_mov_b32 v[10:11], 0, 0
	s_mov_b64 s[18:19], 0
	s_mov_b64 s[20:21], 0
.LBB1_293:                              ;   Parent Loop BB1_282 Depth=1
                                        ; =>  This Inner Loop Header: Depth=2
	v_mov_b32_e32 v13, s21
	v_add_co_u32_e32 v14, vcc, s20, v6
	v_addc_co_u32_e32 v15, vcc, v7, v13, vcc
	flat_load_ubyte v13, v[14:15]
	s_add_u32 s20, s20, 1
	v_mov_b32_e32 v15, s22
	s_addc_u32 s21, s21, 0
	v_cmp_eq_u32_e32 vcc, s20, v12
	s_waitcnt vmcnt(0) lgkmcnt(0)
	v_and_b32_e32 v14, 0xffff, v13
	v_lshlrev_b64 v[14:15], s18, v[14:15]
	s_add_u32 s18, s18, 8
	s_addc_u32 s19, s19, 0
	v_or_b32_e32 v11, v15, v11
	s_or_b64 s[16:17], vcc, s[16:17]
	v_or_b32_e32 v10, v14, v10
	s_andn2_b64 exec, exec, s[16:17]
	s_cbranch_execnz .LBB1_293
; %bb.294:                              ;   in Loop: Header=BB1_282 Depth=1
	s_or_b64 exec, exec, s[16:17]
.LBB1_295:                              ;   in Loop: Header=BB1_282 Depth=1
	s_or_b64 exec, exec, s[14:15]
	s_mov_b32 s14, 0
                                        ; implicit-def: $vgpr12
.LBB1_296:                              ;   in Loop: Header=BB1_282 Depth=1
	s_or_saveexec_b64 s[4:5], s[4:5]
	v_mov_b32_e32 v14, s14
	s_xor_b64 exec, exec, s[4:5]
	s_cbranch_execz .LBB1_298
; %bb.297:                              ;   in Loop: Header=BB1_282 Depth=1
	flat_load_dwordx2 v[10:11], v[6:7]
	v_add_u32_e32 v14, -8, v12
	v_add_co_u32_e32 v6, vcc, 8, v6
	v_addc_co_u32_e32 v7, vcc, 0, v7, vcc
	s_waitcnt vmcnt(0) lgkmcnt(0)
	v_and_b32_e32 v12, 0xff, v11
	v_and_b32_e32 v13, 0xff00, v11
	;; [unrolled: 1-line block ×4, first 2 shown]
	v_or_b32_e32 v12, v12, v13
	v_or3_b32 v10, v10, 0, 0
	v_or3_b32 v11, v12, v15, v11
.LBB1_298:                              ;   in Loop: Header=BB1_282 Depth=1
	s_or_b64 exec, exec, s[4:5]
	v_cmp_gt_u32_e32 vcc, 8, v14
                                        ; implicit-def: $sgpr14
	s_and_saveexec_b64 s[4:5], vcc
	s_xor_b64 s[4:5], exec, s[4:5]
	s_cbranch_execz .LBB1_304
; %bb.299:                              ;   in Loop: Header=BB1_282 Depth=1
	v_cmp_ne_u32_e32 vcc, 0, v14
	v_pk_mov_b32 v[12:13], 0, 0
	s_and_saveexec_b64 s[14:15], vcc
	s_cbranch_execz .LBB1_303
; %bb.300:                              ;   in Loop: Header=BB1_282 Depth=1
	s_mov_b64 s[16:17], 0
	v_pk_mov_b32 v[12:13], 0, 0
	s_mov_b64 s[18:19], 0
	s_mov_b64 s[20:21], 0
.LBB1_301:                              ;   Parent Loop BB1_282 Depth=1
                                        ; =>  This Inner Loop Header: Depth=2
	v_mov_b32_e32 v15, s21
	v_add_co_u32_e32 v16, vcc, s20, v6
	v_addc_co_u32_e32 v17, vcc, v7, v15, vcc
	flat_load_ubyte v15, v[16:17]
	s_add_u32 s20, s20, 1
	v_mov_b32_e32 v17, s22
	s_addc_u32 s21, s21, 0
	v_cmp_eq_u32_e32 vcc, s20, v14
	s_waitcnt vmcnt(0) lgkmcnt(0)
	v_and_b32_e32 v16, 0xffff, v15
	v_lshlrev_b64 v[16:17], s18, v[16:17]
	s_add_u32 s18, s18, 8
	s_addc_u32 s19, s19, 0
	v_or_b32_e32 v13, v17, v13
	s_or_b64 s[16:17], vcc, s[16:17]
	v_or_b32_e32 v12, v16, v12
	s_andn2_b64 exec, exec, s[16:17]
	s_cbranch_execnz .LBB1_301
; %bb.302:                              ;   in Loop: Header=BB1_282 Depth=1
	s_or_b64 exec, exec, s[16:17]
.LBB1_303:                              ;   in Loop: Header=BB1_282 Depth=1
	s_or_b64 exec, exec, s[14:15]
	s_mov_b32 s14, 0
                                        ; implicit-def: $vgpr14
.LBB1_304:                              ;   in Loop: Header=BB1_282 Depth=1
	s_or_saveexec_b64 s[4:5], s[4:5]
	v_mov_b32_e32 v16, s14
	s_xor_b64 exec, exec, s[4:5]
	s_cbranch_execz .LBB1_306
; %bb.305:                              ;   in Loop: Header=BB1_282 Depth=1
	flat_load_dwordx2 v[12:13], v[6:7]
	v_add_u32_e32 v16, -8, v14
	v_add_co_u32_e32 v6, vcc, 8, v6
	v_addc_co_u32_e32 v7, vcc, 0, v7, vcc
	s_waitcnt vmcnt(0) lgkmcnt(0)
	v_and_b32_e32 v14, 0xff, v13
	v_and_b32_e32 v15, 0xff00, v13
	;; [unrolled: 1-line block ×4, first 2 shown]
	v_or_b32_e32 v14, v14, v15
	v_or3_b32 v12, v12, 0, 0
	v_or3_b32 v13, v14, v17, v13
.LBB1_306:                              ;   in Loop: Header=BB1_282 Depth=1
	s_or_b64 exec, exec, s[4:5]
	v_cmp_gt_u32_e32 vcc, 8, v16
                                        ; implicit-def: $vgpr14_vgpr15
                                        ; implicit-def: $sgpr14
	s_and_saveexec_b64 s[4:5], vcc
	s_xor_b64 s[4:5], exec, s[4:5]
	s_cbranch_execz .LBB1_312
; %bb.307:                              ;   in Loop: Header=BB1_282 Depth=1
	v_cmp_ne_u32_e32 vcc, 0, v16
	v_pk_mov_b32 v[14:15], 0, 0
	s_and_saveexec_b64 s[14:15], vcc
	s_cbranch_execz .LBB1_311
; %bb.308:                              ;   in Loop: Header=BB1_282 Depth=1
	s_mov_b64 s[16:17], 0
	v_pk_mov_b32 v[14:15], 0, 0
	s_mov_b64 s[18:19], 0
	s_mov_b64 s[20:21], 0
.LBB1_309:                              ;   Parent Loop BB1_282 Depth=1
                                        ; =>  This Inner Loop Header: Depth=2
	v_mov_b32_e32 v17, s21
	v_add_co_u32_e32 v18, vcc, s20, v6
	v_addc_co_u32_e32 v19, vcc, v7, v17, vcc
	flat_load_ubyte v17, v[18:19]
	s_add_u32 s20, s20, 1
	v_mov_b32_e32 v19, s22
	s_addc_u32 s21, s21, 0
	v_cmp_eq_u32_e32 vcc, s20, v16
	s_waitcnt vmcnt(0) lgkmcnt(0)
	v_and_b32_e32 v18, 0xffff, v17
	v_lshlrev_b64 v[18:19], s18, v[18:19]
	s_add_u32 s18, s18, 8
	s_addc_u32 s19, s19, 0
	v_or_b32_e32 v15, v19, v15
	s_or_b64 s[16:17], vcc, s[16:17]
	v_or_b32_e32 v14, v18, v14
	s_andn2_b64 exec, exec, s[16:17]
	s_cbranch_execnz .LBB1_309
; %bb.310:                              ;   in Loop: Header=BB1_282 Depth=1
	s_or_b64 exec, exec, s[16:17]
.LBB1_311:                              ;   in Loop: Header=BB1_282 Depth=1
	s_or_b64 exec, exec, s[14:15]
	s_mov_b32 s14, 0
                                        ; implicit-def: $vgpr16
.LBB1_312:                              ;   in Loop: Header=BB1_282 Depth=1
	s_or_saveexec_b64 s[4:5], s[4:5]
	v_mov_b32_e32 v18, s14
	s_xor_b64 exec, exec, s[4:5]
	s_cbranch_execz .LBB1_314
; %bb.313:                              ;   in Loop: Header=BB1_282 Depth=1
	flat_load_dwordx2 v[14:15], v[6:7]
	v_add_u32_e32 v18, -8, v16
	v_add_co_u32_e32 v6, vcc, 8, v6
	v_addc_co_u32_e32 v7, vcc, 0, v7, vcc
	s_waitcnt vmcnt(0) lgkmcnt(0)
	v_and_b32_e32 v16, 0xff, v15
	v_and_b32_e32 v17, 0xff00, v15
	;; [unrolled: 1-line block ×4, first 2 shown]
	v_or_b32_e32 v16, v16, v17
	v_or3_b32 v14, v14, 0, 0
	v_or3_b32 v15, v16, v19, v15
.LBB1_314:                              ;   in Loop: Header=BB1_282 Depth=1
	s_or_b64 exec, exec, s[4:5]
	v_cmp_gt_u32_e32 vcc, 8, v18
                                        ; implicit-def: $sgpr14
	s_and_saveexec_b64 s[4:5], vcc
	s_xor_b64 s[4:5], exec, s[4:5]
	s_cbranch_execz .LBB1_320
; %bb.315:                              ;   in Loop: Header=BB1_282 Depth=1
	v_cmp_ne_u32_e32 vcc, 0, v18
	v_pk_mov_b32 v[16:17], 0, 0
	s_and_saveexec_b64 s[14:15], vcc
	s_cbranch_execz .LBB1_319
; %bb.316:                              ;   in Loop: Header=BB1_282 Depth=1
	s_mov_b64 s[16:17], 0
	v_pk_mov_b32 v[16:17], 0, 0
	s_mov_b64 s[18:19], 0
	s_mov_b64 s[20:21], 0
.LBB1_317:                              ;   Parent Loop BB1_282 Depth=1
                                        ; =>  This Inner Loop Header: Depth=2
	v_mov_b32_e32 v19, s21
	v_add_co_u32_e32 v20, vcc, s20, v6
	v_addc_co_u32_e32 v21, vcc, v7, v19, vcc
	flat_load_ubyte v19, v[20:21]
	s_add_u32 s20, s20, 1
	v_mov_b32_e32 v21, s22
	s_addc_u32 s21, s21, 0
	v_cmp_eq_u32_e32 vcc, s20, v18
	s_waitcnt vmcnt(0) lgkmcnt(0)
	v_and_b32_e32 v20, 0xffff, v19
	v_lshlrev_b64 v[20:21], s18, v[20:21]
	s_add_u32 s18, s18, 8
	s_addc_u32 s19, s19, 0
	v_or_b32_e32 v17, v21, v17
	s_or_b64 s[16:17], vcc, s[16:17]
	v_or_b32_e32 v16, v20, v16
	s_andn2_b64 exec, exec, s[16:17]
	s_cbranch_execnz .LBB1_317
; %bb.318:                              ;   in Loop: Header=BB1_282 Depth=1
	s_or_b64 exec, exec, s[16:17]
.LBB1_319:                              ;   in Loop: Header=BB1_282 Depth=1
	s_or_b64 exec, exec, s[14:15]
	s_mov_b32 s14, 0
                                        ; implicit-def: $vgpr18
.LBB1_320:                              ;   in Loop: Header=BB1_282 Depth=1
	s_or_saveexec_b64 s[4:5], s[4:5]
	v_mov_b32_e32 v20, s14
	s_xor_b64 exec, exec, s[4:5]
	s_cbranch_execz .LBB1_322
; %bb.321:                              ;   in Loop: Header=BB1_282 Depth=1
	flat_load_dwordx2 v[16:17], v[6:7]
	v_add_u32_e32 v20, -8, v18
	v_add_co_u32_e32 v6, vcc, 8, v6
	v_addc_co_u32_e32 v7, vcc, 0, v7, vcc
	s_waitcnt vmcnt(0) lgkmcnt(0)
	v_and_b32_e32 v18, 0xff, v17
	v_and_b32_e32 v19, 0xff00, v17
	;; [unrolled: 1-line block ×4, first 2 shown]
	v_or_b32_e32 v18, v18, v19
	v_or3_b32 v16, v16, 0, 0
	v_or3_b32 v17, v18, v21, v17
.LBB1_322:                              ;   in Loop: Header=BB1_282 Depth=1
	s_or_b64 exec, exec, s[4:5]
	v_cmp_gt_u32_e32 vcc, 8, v20
                                        ; implicit-def: $vgpr18_vgpr19
                                        ; implicit-def: $sgpr14
	s_and_saveexec_b64 s[4:5], vcc
	s_xor_b64 s[4:5], exec, s[4:5]
	s_cbranch_execz .LBB1_328
; %bb.323:                              ;   in Loop: Header=BB1_282 Depth=1
	v_cmp_ne_u32_e32 vcc, 0, v20
	v_pk_mov_b32 v[18:19], 0, 0
	s_and_saveexec_b64 s[14:15], vcc
	s_cbranch_execz .LBB1_327
; %bb.324:                              ;   in Loop: Header=BB1_282 Depth=1
	s_mov_b64 s[16:17], 0
	v_pk_mov_b32 v[18:19], 0, 0
	s_mov_b64 s[18:19], 0
	s_mov_b64 s[20:21], 0
.LBB1_325:                              ;   Parent Loop BB1_282 Depth=1
                                        ; =>  This Inner Loop Header: Depth=2
	v_mov_b32_e32 v21, s21
	v_add_co_u32_e32 v22, vcc, s20, v6
	v_addc_co_u32_e32 v23, vcc, v7, v21, vcc
	flat_load_ubyte v21, v[22:23]
	s_add_u32 s20, s20, 1
	v_mov_b32_e32 v23, s22
	s_addc_u32 s21, s21, 0
	v_cmp_eq_u32_e32 vcc, s20, v20
	s_waitcnt vmcnt(0) lgkmcnt(0)
	v_and_b32_e32 v22, 0xffff, v21
	v_lshlrev_b64 v[22:23], s18, v[22:23]
	s_add_u32 s18, s18, 8
	s_addc_u32 s19, s19, 0
	v_or_b32_e32 v19, v23, v19
	s_or_b64 s[16:17], vcc, s[16:17]
	v_or_b32_e32 v18, v22, v18
	s_andn2_b64 exec, exec, s[16:17]
	s_cbranch_execnz .LBB1_325
; %bb.326:                              ;   in Loop: Header=BB1_282 Depth=1
	s_or_b64 exec, exec, s[16:17]
.LBB1_327:                              ;   in Loop: Header=BB1_282 Depth=1
	s_or_b64 exec, exec, s[14:15]
	s_mov_b32 s14, 0
                                        ; implicit-def: $vgpr20
.LBB1_328:                              ;   in Loop: Header=BB1_282 Depth=1
	s_or_saveexec_b64 s[4:5], s[4:5]
	v_mov_b32_e32 v22, s14
	s_xor_b64 exec, exec, s[4:5]
	s_cbranch_execz .LBB1_330
; %bb.329:                              ;   in Loop: Header=BB1_282 Depth=1
	flat_load_dwordx2 v[18:19], v[6:7]
	v_add_u32_e32 v22, -8, v20
	v_add_co_u32_e32 v6, vcc, 8, v6
	v_addc_co_u32_e32 v7, vcc, 0, v7, vcc
	s_waitcnt vmcnt(0) lgkmcnt(0)
	v_and_b32_e32 v20, 0xff, v19
	v_and_b32_e32 v21, 0xff00, v19
	;; [unrolled: 1-line block ×4, first 2 shown]
	v_or_b32_e32 v20, v20, v21
	v_or3_b32 v18, v18, 0, 0
	v_or3_b32 v19, v20, v23, v19
.LBB1_330:                              ;   in Loop: Header=BB1_282 Depth=1
	s_or_b64 exec, exec, s[4:5]
	v_cmp_gt_u32_e32 vcc, 8, v22
	s_and_saveexec_b64 s[4:5], vcc
	s_xor_b64 s[4:5], exec, s[4:5]
	s_cbranch_execz .LBB1_336
; %bb.331:                              ;   in Loop: Header=BB1_282 Depth=1
	v_cmp_ne_u32_e32 vcc, 0, v22
	v_pk_mov_b32 v[20:21], 0, 0
	s_and_saveexec_b64 s[14:15], vcc
	s_cbranch_execz .LBB1_335
; %bb.332:                              ;   in Loop: Header=BB1_282 Depth=1
	s_mov_b64 s[16:17], 0
	v_pk_mov_b32 v[20:21], 0, 0
	s_mov_b64 s[18:19], 0
.LBB1_333:                              ;   Parent Loop BB1_282 Depth=1
                                        ; =>  This Inner Loop Header: Depth=2
	flat_load_ubyte v23, v[6:7]
	v_mov_b32_e32 v25, s22
	v_add_co_u32_e32 v6, vcc, 1, v6
	v_add_u32_e32 v22, -1, v22
	v_addc_co_u32_e32 v7, vcc, 0, v7, vcc
	v_cmp_eq_u32_e32 vcc, 0, v22
	s_waitcnt vmcnt(0) lgkmcnt(0)
	v_and_b32_e32 v24, 0xffff, v23
	v_lshlrev_b64 v[24:25], s18, v[24:25]
	s_add_u32 s18, s18, 8
	s_addc_u32 s19, s19, 0
	v_or_b32_e32 v21, v25, v21
	s_or_b64 s[16:17], vcc, s[16:17]
	v_or_b32_e32 v20, v24, v20
	s_andn2_b64 exec, exec, s[16:17]
	s_cbranch_execnz .LBB1_333
; %bb.334:                              ;   in Loop: Header=BB1_282 Depth=1
	s_or_b64 exec, exec, s[16:17]
.LBB1_335:                              ;   in Loop: Header=BB1_282 Depth=1
	s_or_b64 exec, exec, s[14:15]
                                        ; implicit-def: $vgpr6_vgpr7
.LBB1_336:                              ;   in Loop: Header=BB1_282 Depth=1
	s_andn2_saveexec_b64 s[4:5], s[4:5]
	s_cbranch_execz .LBB1_338
; %bb.337:                              ;   in Loop: Header=BB1_282 Depth=1
	flat_load_dwordx2 v[6:7], v[6:7]
	s_waitcnt vmcnt(0) lgkmcnt(0)
	v_and_b32_e32 v20, 0xff, v7
	v_and_b32_e32 v21, 0xff00, v7
	;; [unrolled: 1-line block ×4, first 2 shown]
	v_or_b32_e32 v20, v20, v21
	v_or3_b32 v21, v20, v22, v7
	v_or3_b32 v20, v6, 0, 0
.LBB1_338:                              ;   in Loop: Header=BB1_282 Depth=1
	s_or_b64 exec, exec, s[4:5]
	v_readfirstlane_b32 s4, v37
	v_cmp_eq_u32_e64 s[4:5], s4, v37
	v_pk_mov_b32 v[6:7], 0, 0
	s_and_saveexec_b64 s[14:15], s[4:5]
	s_cbranch_execz .LBB1_344
; %bb.339:                              ;   in Loop: Header=BB1_282 Depth=1
	global_load_dwordx2 v[24:25], v31, s[10:11] offset:24 glc
	s_waitcnt vmcnt(0)
	buffer_invl2
	buffer_wbinvl1_vol
	global_load_dwordx2 v[6:7], v31, s[10:11] offset:40
	global_load_dwordx2 v[22:23], v31, s[10:11]
	s_waitcnt vmcnt(1)
	v_and_b32_e32 v6, v6, v24
	v_and_b32_e32 v7, v7, v25
	v_mul_lo_u32 v7, v7, 24
	v_mul_hi_u32 v29, v6, 24
	v_mul_lo_u32 v6, v6, 24
	v_add_u32_e32 v7, v29, v7
	s_waitcnt vmcnt(0)
	v_add_co_u32_e32 v6, vcc, v22, v6
	v_addc_co_u32_e32 v7, vcc, v23, v7, vcc
	global_load_dwordx2 v[22:23], v[6:7], off glc
	s_waitcnt vmcnt(0)
	global_atomic_cmpswap_x2 v[6:7], v31, v[22:25], s[10:11] offset:24 glc
	s_waitcnt vmcnt(0)
	buffer_invl2
	buffer_wbinvl1_vol
	v_cmp_ne_u64_e32 vcc, v[6:7], v[24:25]
	s_and_saveexec_b64 s[16:17], vcc
	s_cbranch_execz .LBB1_343
; %bb.340:                              ;   in Loop: Header=BB1_282 Depth=1
	s_mov_b64 s[18:19], 0
.LBB1_341:                              ;   Parent Loop BB1_282 Depth=1
                                        ; =>  This Inner Loop Header: Depth=2
	s_sleep 1
	global_load_dwordx2 v[22:23], v31, s[10:11] offset:40
	global_load_dwordx2 v[34:35], v31, s[10:11]
	v_pk_mov_b32 v[24:25], v[6:7], v[6:7] op_sel:[0,1]
	s_waitcnt vmcnt(1)
	v_and_b32_e32 v6, v22, v24
	s_waitcnt vmcnt(0)
	v_mad_u64_u32 v[6:7], s[20:21], v6, 24, v[34:35]
	v_and_b32_e32 v23, v23, v25
	v_mov_b32_e32 v22, v7
	v_mad_u64_u32 v[22:23], s[20:21], v23, 24, v[22:23]
	v_mov_b32_e32 v7, v22
	global_load_dwordx2 v[22:23], v[6:7], off glc
	s_waitcnt vmcnt(0)
	global_atomic_cmpswap_x2 v[6:7], v31, v[22:25], s[10:11] offset:24 glc
	s_waitcnt vmcnt(0)
	buffer_invl2
	buffer_wbinvl1_vol
	v_cmp_eq_u64_e32 vcc, v[6:7], v[24:25]
	s_or_b64 s[18:19], vcc, s[18:19]
	s_andn2_b64 exec, exec, s[18:19]
	s_cbranch_execnz .LBB1_341
; %bb.342:                              ;   in Loop: Header=BB1_282 Depth=1
	s_or_b64 exec, exec, s[18:19]
.LBB1_343:                              ;   in Loop: Header=BB1_282 Depth=1
	s_or_b64 exec, exec, s[16:17]
.LBB1_344:                              ;   in Loop: Header=BB1_282 Depth=1
	s_or_b64 exec, exec, s[14:15]
	global_load_dwordx2 v[34:35], v31, s[10:11] offset:40
	global_load_dwordx4 v[22:25], v31, s[10:11]
	v_readfirstlane_b32 s14, v6
	v_readfirstlane_b32 s15, v7
	s_mov_b64 s[16:17], exec
	s_waitcnt vmcnt(1)
	v_readfirstlane_b32 s18, v34
	v_readfirstlane_b32 s19, v35
	s_and_b64 s[18:19], s[14:15], s[18:19]
	s_mul_i32 s20, s19, 24
	s_mul_hi_u32 s21, s18, 24
	s_mul_i32 s24, s18, 24
	s_add_i32 s20, s21, s20
	v_mov_b32_e32 v6, s20
	s_waitcnt vmcnt(0)
	v_add_co_u32_e32 v34, vcc, s24, v22
	v_addc_co_u32_e32 v35, vcc, v23, v6, vcc
	s_and_saveexec_b64 s[20:21], s[4:5]
	s_cbranch_execz .LBB1_346
; %bb.345:                              ;   in Loop: Header=BB1_282 Depth=1
	v_pk_mov_b32 v[6:7], s[16:17], s[16:17] op_sel:[0,1]
	global_store_dwordx4 v[34:35], v[6:9], off offset:8
.LBB1_346:                              ;   in Loop: Header=BB1_282 Depth=1
	s_or_b64 exec, exec, s[20:21]
	s_lshl_b64 s[16:17], s[18:19], 12
	v_mov_b32_e32 v7, s17
	v_add_co_u32_e32 v6, vcc, s16, v24
	v_addc_co_u32_e32 v7, vcc, v25, v7, vcc
	v_or_b32_e32 v24, 0, v1
	v_cmp_lt_u64_e32 vcc, 56, v[26:27]
	v_or_b32_e32 v25, v0, v28
	v_cndmask_b32_e32 v1, v24, v1, vcc
	v_lshl_add_u32 v24, v32, 2, 28
	v_cndmask_b32_e32 v0, v25, v0, vcc
	v_and_b32_e32 v24, 0x1e0, v24
	v_and_or_b32 v0, v0, s23, v24
	v_readfirstlane_b32 s16, v6
	v_readfirstlane_b32 s17, v7
	s_nop 4
	global_store_dwordx4 v36, v[0:3], s[16:17]
	global_store_dwordx4 v36, v[10:13], s[16:17] offset:16
	global_store_dwordx4 v36, v[14:17], s[16:17] offset:32
	;; [unrolled: 1-line block ×3, first 2 shown]
	s_and_saveexec_b64 s[16:17], s[4:5]
	s_cbranch_execz .LBB1_354
; %bb.347:                              ;   in Loop: Header=BB1_282 Depth=1
	global_load_dwordx2 v[14:15], v31, s[10:11] offset:32 glc
	global_load_dwordx2 v[0:1], v31, s[10:11] offset:40
	v_mov_b32_e32 v12, s14
	v_mov_b32_e32 v13, s15
	s_waitcnt vmcnt(0)
	v_readfirstlane_b32 s18, v0
	v_readfirstlane_b32 s19, v1
	s_and_b64 s[18:19], s[18:19], s[14:15]
	s_mul_i32 s19, s19, 24
	s_mul_hi_u32 s20, s18, 24
	s_mul_i32 s18, s18, 24
	s_add_i32 s19, s20, s19
	v_mov_b32_e32 v0, s19
	v_add_co_u32_e32 v10, vcc, s18, v22
	v_addc_co_u32_e32 v11, vcc, v23, v0, vcc
	global_store_dwordx2 v[10:11], v[14:15], off
	buffer_wbl2
	s_waitcnt vmcnt(0)
	global_atomic_cmpswap_x2 v[2:3], v31, v[12:15], s[10:11] offset:32 glc
	s_waitcnt vmcnt(0)
	v_cmp_ne_u64_e32 vcc, v[2:3], v[14:15]
	s_and_saveexec_b64 s[18:19], vcc
	s_cbranch_execz .LBB1_350
; %bb.348:                              ;   in Loop: Header=BB1_282 Depth=1
	s_mov_b64 s[20:21], 0
.LBB1_349:                              ;   Parent Loop BB1_282 Depth=1
                                        ; =>  This Inner Loop Header: Depth=2
	s_sleep 1
	global_store_dwordx2 v[10:11], v[2:3], off
	v_mov_b32_e32 v0, s14
	v_mov_b32_e32 v1, s15
	buffer_wbl2
	s_waitcnt vmcnt(0)
	global_atomic_cmpswap_x2 v[0:1], v31, v[0:3], s[10:11] offset:32 glc
	s_waitcnt vmcnt(0)
	v_cmp_eq_u64_e32 vcc, v[0:1], v[2:3]
	s_or_b64 s[20:21], vcc, s[20:21]
	v_pk_mov_b32 v[2:3], v[0:1], v[0:1] op_sel:[0,1]
	s_andn2_b64 exec, exec, s[20:21]
	s_cbranch_execnz .LBB1_349
.LBB1_350:                              ;   in Loop: Header=BB1_282 Depth=1
	s_or_b64 exec, exec, s[18:19]
	global_load_dwordx2 v[0:1], v31, s[10:11] offset:16
	s_mov_b64 s[20:21], exec
	v_mbcnt_lo_u32_b32 v2, s20, 0
	v_mbcnt_hi_u32_b32 v2, s21, v2
	v_cmp_eq_u32_e32 vcc, 0, v2
	s_and_saveexec_b64 s[18:19], vcc
	s_cbranch_execz .LBB1_352
; %bb.351:                              ;   in Loop: Header=BB1_282 Depth=1
	s_bcnt1_i32_b64 s20, s[20:21]
	v_mov_b32_e32 v30, s20
	buffer_wbl2
	s_waitcnt vmcnt(0)
	global_atomic_add_x2 v[0:1], v[30:31], off offset:8
.LBB1_352:                              ;   in Loop: Header=BB1_282 Depth=1
	s_or_b64 exec, exec, s[18:19]
	s_waitcnt vmcnt(0)
	global_load_dwordx2 v[2:3], v[0:1], off offset:16
	s_waitcnt vmcnt(0)
	v_cmp_eq_u64_e32 vcc, 0, v[2:3]
	s_cbranch_vccnz .LBB1_354
; %bb.353:                              ;   in Loop: Header=BB1_282 Depth=1
	global_load_dword v30, v[0:1], off offset:24
	s_waitcnt vmcnt(0)
	v_and_b32_e32 v0, 0xffffff, v30
	v_readfirstlane_b32 m0, v0
	buffer_wbl2
	global_store_dwordx2 v[2:3], v[30:31], off
	s_sendmsg sendmsg(MSG_INTERRUPT)
.LBB1_354:                              ;   in Loop: Header=BB1_282 Depth=1
	s_or_b64 exec, exec, s[16:17]
	v_add_co_u32_e32 v0, vcc, v6, v36
	v_addc_co_u32_e32 v1, vcc, 0, v7, vcc
	s_branch .LBB1_358
.LBB1_355:                              ;   in Loop: Header=BB1_358 Depth=2
	s_or_b64 exec, exec, s[16:17]
	v_readfirstlane_b32 s16, v2
	s_cmp_eq_u32 s16, 0
	s_cbranch_scc1 .LBB1_357
; %bb.356:                              ;   in Loop: Header=BB1_358 Depth=2
	s_sleep 1
	s_cbranch_execnz .LBB1_358
	s_branch .LBB1_360
.LBB1_357:                              ;   in Loop: Header=BB1_282 Depth=1
	s_branch .LBB1_360
.LBB1_358:                              ;   Parent Loop BB1_282 Depth=1
                                        ; =>  This Inner Loop Header: Depth=2
	v_mov_b32_e32 v2, 1
	s_and_saveexec_b64 s[16:17], s[4:5]
	s_cbranch_execz .LBB1_355
; %bb.359:                              ;   in Loop: Header=BB1_358 Depth=2
	global_load_dword v2, v[34:35], off offset:20 glc
	s_waitcnt vmcnt(0)
	buffer_invl2
	buffer_wbinvl1_vol
	v_and_b32_e32 v2, 1, v2
	s_branch .LBB1_355
.LBB1_360:                              ;   in Loop: Header=BB1_282 Depth=1
	global_load_dwordx4 v[0:3], v[0:1], off
	s_and_saveexec_b64 s[16:17], s[4:5]
	s_cbranch_execz .LBB1_281
; %bb.361:                              ;   in Loop: Header=BB1_282 Depth=1
	global_load_dwordx2 v[2:3], v31, s[10:11] offset:40
	global_load_dwordx2 v[6:7], v31, s[10:11] offset:24 glc
	global_load_dwordx2 v[14:15], v31, s[10:11]
	v_mov_b32_e32 v11, s15
	s_waitcnt vmcnt(2)
	v_add_co_u32_e32 v13, vcc, 1, v2
	v_addc_co_u32_e32 v16, vcc, 0, v3, vcc
	v_add_co_u32_e32 v10, vcc, s14, v13
	v_addc_co_u32_e32 v11, vcc, v16, v11, vcc
	v_cmp_eq_u64_e32 vcc, 0, v[10:11]
	v_cndmask_b32_e32 v11, v11, v16, vcc
	v_cndmask_b32_e32 v10, v10, v13, vcc
	v_and_b32_e32 v3, v11, v3
	v_and_b32_e32 v2, v10, v2
	v_mul_lo_u32 v3, v3, 24
	v_mul_hi_u32 v13, v2, 24
	v_mul_lo_u32 v2, v2, 24
	v_add_u32_e32 v3, v13, v3
	s_waitcnt vmcnt(0)
	v_add_co_u32_e32 v2, vcc, v14, v2
	v_addc_co_u32_e32 v3, vcc, v15, v3, vcc
	v_mov_b32_e32 v12, v6
	global_store_dwordx2 v[2:3], v[6:7], off
	v_mov_b32_e32 v13, v7
	buffer_wbl2
	s_waitcnt vmcnt(0)
	global_atomic_cmpswap_x2 v[12:13], v31, v[10:13], s[10:11] offset:24 glc
	s_waitcnt vmcnt(0)
	v_cmp_ne_u64_e32 vcc, v[12:13], v[6:7]
	s_and_b64 exec, exec, vcc
	s_cbranch_execz .LBB1_281
; %bb.362:                              ;   in Loop: Header=BB1_282 Depth=1
	s_mov_b64 s[4:5], 0
.LBB1_363:                              ;   Parent Loop BB1_282 Depth=1
                                        ; =>  This Inner Loop Header: Depth=2
	s_sleep 1
	global_store_dwordx2 v[2:3], v[12:13], off
	buffer_wbl2
	s_waitcnt vmcnt(0)
	global_atomic_cmpswap_x2 v[6:7], v31, v[10:13], s[10:11] offset:24 glc
	s_waitcnt vmcnt(0)
	v_cmp_eq_u64_e32 vcc, v[6:7], v[12:13]
	s_or_b64 s[4:5], vcc, s[4:5]
	v_pk_mov_b32 v[12:13], v[6:7], v[6:7] op_sel:[0,1]
	s_andn2_b64 exec, exec, s[4:5]
	s_cbranch_execnz .LBB1_363
	s_branch .LBB1_281
.LBB1_364:
	s_or_b64 exec, exec, s[6:7]
                                        ; implicit-def: $vgpr36
                                        ; implicit-def: $vgpr37
.LBB1_365:
	s_andn2_saveexec_b64 s[6:7], s[12:13]
	s_cbranch_execz .LBB1_392
; %bb.366:
	v_readfirstlane_b32 s4, v37
	v_cmp_eq_u32_e64 s[4:5], s4, v37
	v_pk_mov_b32 v[8:9], 0, 0
	s_and_saveexec_b64 s[12:13], s[4:5]
	s_cbranch_execz .LBB1_372
; %bb.367:
	s_waitcnt vmcnt(0)
	v_mov_b32_e32 v2, 0
	global_load_dwordx2 v[6:7], v2, s[10:11] offset:24 glc
	s_waitcnt vmcnt(0)
	buffer_invl2
	buffer_wbinvl1_vol
	global_load_dwordx2 v[4:5], v2, s[10:11] offset:40
	global_load_dwordx2 v[8:9], v2, s[10:11]
	s_waitcnt vmcnt(1)
	v_and_b32_e32 v3, v4, v6
	v_and_b32_e32 v4, v5, v7
	v_mul_lo_u32 v4, v4, 24
	v_mul_hi_u32 v5, v3, 24
	v_mul_lo_u32 v3, v3, 24
	v_add_u32_e32 v5, v5, v4
	s_waitcnt vmcnt(0)
	v_add_co_u32_e32 v4, vcc, v8, v3
	v_addc_co_u32_e32 v5, vcc, v9, v5, vcc
	global_load_dwordx2 v[4:5], v[4:5], off glc
	s_waitcnt vmcnt(0)
	global_atomic_cmpswap_x2 v[8:9], v2, v[4:7], s[10:11] offset:24 glc
	s_waitcnt vmcnt(0)
	buffer_invl2
	buffer_wbinvl1_vol
	v_cmp_ne_u64_e32 vcc, v[8:9], v[6:7]
	s_and_saveexec_b64 s[14:15], vcc
	s_cbranch_execz .LBB1_371
; %bb.368:
	s_mov_b64 s[16:17], 0
.LBB1_369:                              ; =>This Inner Loop Header: Depth=1
	s_sleep 1
	global_load_dwordx2 v[4:5], v2, s[10:11] offset:40
	global_load_dwordx2 v[10:11], v2, s[10:11]
	v_pk_mov_b32 v[6:7], v[8:9], v[8:9] op_sel:[0,1]
	s_waitcnt vmcnt(1)
	v_and_b32_e32 v4, v4, v6
	v_and_b32_e32 v3, v5, v7
	s_waitcnt vmcnt(0)
	v_mad_u64_u32 v[4:5], s[18:19], v4, 24, v[10:11]
	v_mov_b32_e32 v8, v5
	v_mad_u64_u32 v[8:9], s[18:19], v3, 24, v[8:9]
	v_mov_b32_e32 v5, v8
	global_load_dwordx2 v[4:5], v[4:5], off glc
	s_waitcnt vmcnt(0)
	global_atomic_cmpswap_x2 v[8:9], v2, v[4:7], s[10:11] offset:24 glc
	s_waitcnt vmcnt(0)
	buffer_invl2
	buffer_wbinvl1_vol
	v_cmp_eq_u64_e32 vcc, v[8:9], v[6:7]
	s_or_b64 s[16:17], vcc, s[16:17]
	s_andn2_b64 exec, exec, s[16:17]
	s_cbranch_execnz .LBB1_369
; %bb.370:
	s_or_b64 exec, exec, s[16:17]
.LBB1_371:
	s_or_b64 exec, exec, s[14:15]
.LBB1_372:
	s_or_b64 exec, exec, s[12:13]
	s_waitcnt vmcnt(0)
	v_mov_b32_e32 v2, 0
	global_load_dwordx2 v[10:11], v2, s[10:11] offset:40
	global_load_dwordx4 v[4:7], v2, s[10:11]
	v_readfirstlane_b32 s12, v8
	v_readfirstlane_b32 s13, v9
	s_mov_b64 s[14:15], exec
	s_waitcnt vmcnt(1)
	v_readfirstlane_b32 s16, v10
	v_readfirstlane_b32 s17, v11
	s_and_b64 s[16:17], s[12:13], s[16:17]
	s_mul_i32 s18, s17, 24
	s_mul_hi_u32 s19, s16, 24
	s_mul_i32 s20, s16, 24
	s_add_i32 s18, s19, s18
	v_mov_b32_e32 v3, s18
	s_waitcnt vmcnt(0)
	v_add_co_u32_e32 v8, vcc, s20, v4
	v_addc_co_u32_e32 v9, vcc, v5, v3, vcc
	s_and_saveexec_b64 s[18:19], s[4:5]
	s_cbranch_execz .LBB1_374
; %bb.373:
	v_pk_mov_b32 v[10:11], s[14:15], s[14:15] op_sel:[0,1]
	v_mov_b32_e32 v12, 2
	v_mov_b32_e32 v13, 1
	global_store_dwordx4 v[8:9], v[10:13], off offset:8
.LBB1_374:
	s_or_b64 exec, exec, s[18:19]
	s_lshl_b64 s[14:15], s[16:17], 12
	v_mov_b32_e32 v3, s15
	v_add_co_u32_e32 v10, vcc, s14, v6
	v_addc_co_u32_e32 v11, vcc, v7, v3, vcc
	s_movk_i32 s14, 0xff1f
	s_mov_b32 s16, 0
	v_and_or_b32 v0, v0, s14, 32
	v_mov_b32_e32 v3, v2
	v_readfirstlane_b32 s14, v10
	v_readfirstlane_b32 s15, v11
	s_mov_b32 s17, s16
	v_add_co_u32_e32 v6, vcc, v10, v36
	s_mov_b32 s18, s16
	s_mov_b32 s19, s16
	s_nop 0
	global_store_dwordx4 v36, v[0:3], s[14:15]
	v_addc_co_u32_e32 v7, vcc, 0, v11, vcc
	v_pk_mov_b32 v[0:1], s[16:17], s[16:17] op_sel:[0,1]
	v_pk_mov_b32 v[2:3], s[18:19], s[18:19] op_sel:[0,1]
	global_store_dwordx4 v36, v[0:3], s[14:15] offset:16
	global_store_dwordx4 v36, v[0:3], s[14:15] offset:32
	;; [unrolled: 1-line block ×3, first 2 shown]
	s_and_saveexec_b64 s[14:15], s[4:5]
	s_cbranch_execz .LBB1_382
; %bb.375:
	v_mov_b32_e32 v10, 0
	global_load_dwordx2 v[14:15], v10, s[10:11] offset:32 glc
	global_load_dwordx2 v[0:1], v10, s[10:11] offset:40
	v_mov_b32_e32 v12, s12
	v_mov_b32_e32 v13, s13
	s_waitcnt vmcnt(0)
	v_readfirstlane_b32 s16, v0
	v_readfirstlane_b32 s17, v1
	s_and_b64 s[16:17], s[16:17], s[12:13]
	s_mul_i32 s17, s17, 24
	s_mul_hi_u32 s18, s16, 24
	s_mul_i32 s16, s16, 24
	s_add_i32 s17, s18, s17
	v_mov_b32_e32 v0, s17
	v_add_co_u32_e32 v4, vcc, s16, v4
	v_addc_co_u32_e32 v5, vcc, v5, v0, vcc
	global_store_dwordx2 v[4:5], v[14:15], off
	buffer_wbl2
	s_waitcnt vmcnt(0)
	global_atomic_cmpswap_x2 v[2:3], v10, v[12:15], s[10:11] offset:32 glc
	s_waitcnt vmcnt(0)
	v_cmp_ne_u64_e32 vcc, v[2:3], v[14:15]
	s_and_saveexec_b64 s[16:17], vcc
	s_cbranch_execz .LBB1_378
; %bb.376:
	s_mov_b64 s[18:19], 0
.LBB1_377:                              ; =>This Inner Loop Header: Depth=1
	s_sleep 1
	global_store_dwordx2 v[4:5], v[2:3], off
	v_mov_b32_e32 v0, s12
	v_mov_b32_e32 v1, s13
	buffer_wbl2
	s_waitcnt vmcnt(0)
	global_atomic_cmpswap_x2 v[0:1], v10, v[0:3], s[10:11] offset:32 glc
	s_waitcnt vmcnt(0)
	v_cmp_eq_u64_e32 vcc, v[0:1], v[2:3]
	s_or_b64 s[18:19], vcc, s[18:19]
	v_pk_mov_b32 v[2:3], v[0:1], v[0:1] op_sel:[0,1]
	s_andn2_b64 exec, exec, s[18:19]
	s_cbranch_execnz .LBB1_377
.LBB1_378:
	s_or_b64 exec, exec, s[16:17]
	v_mov_b32_e32 v3, 0
	global_load_dwordx2 v[0:1], v3, s[10:11] offset:16
	s_mov_b64 s[16:17], exec
	v_mbcnt_lo_u32_b32 v2, s16, 0
	v_mbcnt_hi_u32_b32 v2, s17, v2
	v_cmp_eq_u32_e32 vcc, 0, v2
	s_and_saveexec_b64 s[18:19], vcc
	s_cbranch_execz .LBB1_380
; %bb.379:
	s_bcnt1_i32_b64 s16, s[16:17]
	v_mov_b32_e32 v2, s16
	buffer_wbl2
	s_waitcnt vmcnt(0)
	global_atomic_add_x2 v[0:1], v[2:3], off offset:8
.LBB1_380:
	s_or_b64 exec, exec, s[18:19]
	s_waitcnt vmcnt(0)
	global_load_dwordx2 v[2:3], v[0:1], off offset:16
	s_waitcnt vmcnt(0)
	v_cmp_eq_u64_e32 vcc, 0, v[2:3]
	s_cbranch_vccnz .LBB1_382
; %bb.381:
	global_load_dword v0, v[0:1], off offset:24
	v_mov_b32_e32 v1, 0
	buffer_wbl2
	s_waitcnt vmcnt(0)
	global_store_dwordx2 v[2:3], v[0:1], off
	v_and_b32_e32 v0, 0xffffff, v0
	v_readfirstlane_b32 m0, v0
	s_sendmsg sendmsg(MSG_INTERRUPT)
.LBB1_382:
	s_or_b64 exec, exec, s[14:15]
	s_branch .LBB1_386
.LBB1_383:                              ;   in Loop: Header=BB1_386 Depth=1
	s_or_b64 exec, exec, s[14:15]
	v_readfirstlane_b32 s14, v0
	s_cmp_eq_u32 s14, 0
	s_cbranch_scc1 .LBB1_385
; %bb.384:                              ;   in Loop: Header=BB1_386 Depth=1
	s_sleep 1
	s_cbranch_execnz .LBB1_386
	s_branch .LBB1_388
.LBB1_385:
	s_branch .LBB1_388
.LBB1_386:                              ; =>This Inner Loop Header: Depth=1
	v_mov_b32_e32 v0, 1
	s_and_saveexec_b64 s[14:15], s[4:5]
	s_cbranch_execz .LBB1_383
; %bb.387:                              ;   in Loop: Header=BB1_386 Depth=1
	global_load_dword v0, v[8:9], off offset:20 glc
	s_waitcnt vmcnt(0)
	buffer_invl2
	buffer_wbinvl1_vol
	v_and_b32_e32 v0, 1, v0
	s_branch .LBB1_383
.LBB1_388:
	global_load_dwordx2 v[0:1], v[6:7], off
	s_and_saveexec_b64 s[14:15], s[4:5]
	s_cbranch_execz .LBB1_391
; %bb.389:
	v_mov_b32_e32 v8, 0
	global_load_dwordx2 v[6:7], v8, s[10:11] offset:40
	global_load_dwordx2 v[10:11], v8, s[10:11] offset:24 glc
	global_load_dwordx2 v[12:13], v8, s[10:11]
	v_mov_b32_e32 v3, s13
	s_mov_b64 s[4:5], 0
	s_waitcnt vmcnt(2)
	v_add_co_u32_e32 v5, vcc, 1, v6
	v_addc_co_u32_e32 v9, vcc, 0, v7, vcc
	v_add_co_u32_e32 v2, vcc, s12, v5
	v_addc_co_u32_e32 v3, vcc, v9, v3, vcc
	v_cmp_eq_u64_e32 vcc, 0, v[2:3]
	v_cndmask_b32_e32 v3, v3, v9, vcc
	v_cndmask_b32_e32 v2, v2, v5, vcc
	v_and_b32_e32 v5, v3, v7
	v_and_b32_e32 v6, v2, v6
	v_mul_lo_u32 v5, v5, 24
	v_mul_hi_u32 v7, v6, 24
	v_mul_lo_u32 v6, v6, 24
	v_add_u32_e32 v5, v7, v5
	s_waitcnt vmcnt(0)
	v_add_co_u32_e32 v6, vcc, v12, v6
	v_addc_co_u32_e32 v7, vcc, v13, v5, vcc
	v_mov_b32_e32 v4, v10
	global_store_dwordx2 v[6:7], v[10:11], off
	v_mov_b32_e32 v5, v11
	buffer_wbl2
	s_waitcnt vmcnt(0)
	global_atomic_cmpswap_x2 v[4:5], v8, v[2:5], s[10:11] offset:24 glc
	s_waitcnt vmcnt(0)
	v_cmp_ne_u64_e32 vcc, v[4:5], v[10:11]
	s_and_b64 exec, exec, vcc
	s_cbranch_execz .LBB1_391
.LBB1_390:                              ; =>This Inner Loop Header: Depth=1
	s_sleep 1
	global_store_dwordx2 v[6:7], v[4:5], off
	buffer_wbl2
	s_waitcnt vmcnt(0)
	global_atomic_cmpswap_x2 v[10:11], v8, v[2:5], s[10:11] offset:24 glc
	s_waitcnt vmcnt(0)
	v_cmp_eq_u64_e32 vcc, v[10:11], v[4:5]
	s_or_b64 s[4:5], vcc, s[4:5]
	v_pk_mov_b32 v[4:5], v[10:11], v[10:11] op_sel:[0,1]
	s_andn2_b64 exec, exec, s[4:5]
	s_cbranch_execnz .LBB1_390
.LBB1_391:
	s_or_b64 exec, exec, s[14:15]
.LBB1_392:
	s_or_b64 exec, exec, s[6:7]
	s_getpc_b64 s[4:5]
	s_add_u32 s4, s4, .str.1@rel32@lo+4
	s_addc_u32 s5, s5, .str.1@rel32@hi+12
	s_getpc_b64 s[6:7]
	s_add_u32 s6, s6, .str.1@rel32@lo+32
	s_addc_u32 s7, s7, .str.1@rel32@hi+40
	s_sub_i32 s10, s6, s4
	s_ashr_i32 s11, s10, 31
	s_waitcnt vmcnt(0)
	v_mov_b32_e32 v2, s4
	v_mov_b32_e32 v3, s5
	;; [unrolled: 1-line block ×5, first 2 shown]
	s_getpc_b64 s[6:7]
	s_add_u32 s6, s6, __ockl_fprintf_append_string_n@rel32@lo+4
	s_addc_u32 s7, s7, __ockl_fprintf_append_string_n@rel32@hi+12
	s_swappc_b64 s[30:31], s[6:7]
	s_trap 2
.Lfunc_end1:
	.size	__assert_fail, .Lfunc_end1-__assert_fail
                                        ; -- End function
	.section	.AMDGPU.csdata,"",@progbits
; Function info:
; codeLenInByte = 15360
; NumSgprs: 38
; NumVgprs: 41
; NumAgprs: 0
; TotalNumVgprs: 41
; ScratchSize: 64
; MemoryBound: 0
	.text
	.p2align	2                               ; -- Begin function _ZN12_GLOBAL__N_17runRingIa7FuncSumIaE11ProtoSimpleILi2ELi2ELi0ELi1ELi0ELi0EELi0ELi1ELi0EEEviiP15ncclDevWorkColl
	.type	_ZN12_GLOBAL__N_17runRingIa7FuncSumIaE11ProtoSimpleILi2ELi2ELi0ELi1ELi0ELi0EELi0ELi1ELi0EEEviiP15ncclDevWorkColl,@function
_ZN12_GLOBAL__N_17runRingIa7FuncSumIaE11ProtoSimpleILi2ELi2ELi0ELi1ELi0ELi0EELi0ELi1ELi0EEEviiP15ncclDevWorkColl: ; @_ZN12_GLOBAL__N_17runRingIa7FuncSumIaE11ProtoSimpleILi2ELi2ELi0ELi1ELi0ELi0EELi0ELi1ELi0EEEviiP15ncclDevWorkColl
; %bb.0:
	s_waitcnt vmcnt(0) expcnt(0) lgkmcnt(0)
	s_mov_b32 s4, s33
	s_mov_b32 s33, s32
	s_or_saveexec_b64 s[6:7], -1
	buffer_store_dword v63, off, s[0:3], s33 offset:76 ; 4-byte Folded Spill
	s_mov_b64 exec, s[6:7]
	v_writelane_b32 v63, s4, 45
	s_addk_i32 s32, 0x1800
	buffer_store_dword v40, off, s[0:3], s33 offset:72 ; 4-byte Folded Spill
	buffer_store_dword v41, off, s[0:3], s33 offset:68 ; 4-byte Folded Spill
	;; [unrolled: 1-line block ×18, first 2 shown]
	buffer_store_dword a36, off, s[0:3], s33 ; 4-byte Folded Spill
	v_writelane_b32 v63, s34, 0
	v_writelane_b32 v63, s35, 1
	;; [unrolled: 1-line block ×45, first 2 shown]
	v_mov_b32_e32 v51, v3
	v_mov_b32_e32 v50, v2
	s_trap 2
	flat_load_dword v8, v[50:51]
	flat_load_dwordx4 v[4:7], v[50:51] offset:72
	flat_load_dwordx2 v[2:3], v[50:51] offset:88
	v_accvgpr_write_b32 a0, v1
	ds_read_b32 v1, v0
                                        ; implicit-def: $vgpr34_vgpr35
	s_waitcnt lgkmcnt(0)
	v_readfirstlane_b32 s66, v1
	s_waitcnt vmcnt(0)
	v_and_b32_e32 v10, 0xff, v8
	v_bfe_u32 v11, v8, 8, 8
	v_cmp_ne_u32_e32 vcc, v1, v10
	s_and_saveexec_b64 s[4:5], vcc
	s_xor_b64 s[4:5], exec, s[4:5]
	s_cbranch_execz .LBB2_6
; %bb.1:
	flat_load_dwordx2 v[8:9], v[50:51] offset:96
	v_cmp_ne_u32_e32 vcc, v11, v1
                                        ; implicit-def: $vgpr34_vgpr35
	s_and_saveexec_b64 s[6:7], vcc
	s_xor_b64 s[6:7], exec, s[6:7]
	s_cbranch_execz .LBB2_3
; %bb.2:
	s_waitcnt vmcnt(0) lgkmcnt(0)
	v_lshrrev_b64 v[34:35], 12, v[8:9]
                                        ; implicit-def: $vgpr8_vgpr9
.LBB2_3:
	s_andn2_saveexec_b64 s[6:7], s[6:7]
	s_cbranch_execz .LBB2_5
; %bb.4:
	s_waitcnt vmcnt(0) lgkmcnt(0)
	v_lshrrev_b32_e32 v34, 1, v9
.LBB2_5:
	s_or_b64 exec, exec, s[6:7]
.LBB2_6:
	s_andn2_saveexec_b64 s[4:5], s[4:5]
	s_cbranch_execz .LBB2_8
; %bb.7:
	s_waitcnt vmcnt(0) lgkmcnt(0)
	flat_load_dwordx2 v[8:9], v[50:51] offset:96
	s_waitcnt vmcnt(0) lgkmcnt(0)
	v_lshlrev_b64 v[34:35], 9, v[8:9]
.LBB2_8:
	s_or_b64 exec, exec, s[4:5]
	s_waitcnt vmcnt(0) lgkmcnt(0)
	flat_load_ushort v8, v[50:51] offset:8
	v_sub_u32_e32 v14, v1, v10
	v_xad_u32 v1, v10, -1, v11
	v_ashrrev_i32_e32 v9, 31, v1
	v_mul_lo_u32 v7, v7, v1
	v_mad_u64_u32 v[4:5], s[6:7], v6, v1, v[4:5]
	v_sub_u32_e32 v1, 0, v14
	v_mul_lo_u32 v6, v6, v9
	v_max_i32_e32 v12, v14, v1
	v_add3_u32 v1, v7, v5, v6
	v_add_co_u32_e32 v4, vcc, v4, v2
	v_addc_co_u32_e32 v9, vcc, v1, v3, vcc
	v_sub_co_u32_e32 v1, vcc, 0, v4
	v_and_b32_e32 v3, v4, v1
	v_subb_co_u32_e32 v2, vcc, 0, v9, vcc
	v_accvgpr_write_b32 a4, v4
	v_and_b32_e32 v4, v9, v2
	v_cvt_f64_u32_e32 v[4:5], v4
	s_mov_b32 s4, 0
	v_ldexp_f64 v[4:5], v[4:5], 32
	s_mov_b32 s5, 0x40700000
	v_mov_b32_e32 v16, 0
	v_accvgpr_write_b32 a5, v9
                                        ; implicit-def: $vgpr28_vgpr29
	s_waitcnt vmcnt(0) lgkmcnt(0)
	v_lshrrev_b32_e32 v1, 1, v8
	v_lshlrev_b32_e32 v6, 1, v1
	v_sub_u32_e32 v2, 0, v6
	v_max_i32_e32 v8, v6, v2
	v_cvt_f32_u32_e32 v7, v8
	v_cvt_f64_u32_e32 v[2:3], v3
	v_add_f64 v[2:3], v[4:5], v[2:3]
	v_min_f64 v[2:3], v[2:3], s[4:5]
	v_rcp_iflag_f32_e32 v7, v7
	v_cvt_i32_f64_e32 v42, v[2:3]
	v_sub_u32_e32 v3, 0, v8
	v_ashrrev_i32_e32 v37, 31, v42
	v_mul_f32_e32 v2, 0x4f7ffffe, v7
	v_cvt_u32_f32_e32 v2, v2
	v_or_b32_e32 v17, v9, v37
	v_cmp_ne_u64_e32 vcc, 0, v[16:17]
	v_mul_lo_u32 v3, v3, v2
	v_mul_hi_u32 v3, v2, v3
	v_add_u32_e32 v2, v2, v3
	s_and_saveexec_b64 s[4:5], vcc
	s_xor_b64 s[6:7], exec, s[4:5]
	s_cbranch_execz .LBB2_10
; %bb.9:
	v_cvt_f32_u32_e32 v3, v42
	v_cvt_f32_u32_e32 v4, v37
	v_sub_co_u32_e32 v9, vcc, 0, v42
	v_subb_co_u32_e32 v13, vcc, 0, v37, vcc
	v_madmk_f32 v3, v4, 0x4f800000, v3
	v_rcp_f32_e32 v3, v3
	v_mul_f32_e32 v3, 0x5f7ffffc, v3
	v_mul_f32_e32 v4, 0x2f800000, v3
	v_trunc_f32_e32 v4, v4
	v_madmk_f32 v3, v4, 0xcf800000, v3
	v_cvt_u32_f32_e32 v7, v4
	v_cvt_u32_f32_e32 v3, v3
	v_mul_lo_u32 v15, v9, v7
	v_mul_lo_u32 v16, v13, v3
	v_mad_u64_u32 v[4:5], s[4:5], v9, v3, 0
	v_add3_u32 v5, v5, v15, v16
	v_mad_u64_u32 v[16:17], s[4:5], v3, v5, 0
	v_mul_hi_u32 v15, v3, v4
	v_add_co_u32_e32 v15, vcc, v15, v16
	v_addc_co_u32_e32 v18, vcc, 0, v17, vcc
	v_mad_u64_u32 v[16:17], s[4:5], v7, v5, 0
	v_mad_u64_u32 v[4:5], s[4:5], v7, v4, 0
	v_add_co_u32_e32 v4, vcc, v15, v4
	v_addc_co_u32_e32 v4, vcc, v18, v5, vcc
	v_addc_co_u32_e32 v5, vcc, 0, v17, vcc
	v_add_co_u32_e32 v4, vcc, v4, v16
	v_addc_co_u32_e32 v5, vcc, 0, v5, vcc
	v_add_co_u32_e32 v3, vcc, v3, v4
	v_addc_co_u32_e32 v7, vcc, v7, v5, vcc
	v_mul_lo_u32 v15, v9, v7
	v_mul_lo_u32 v13, v13, v3
	v_mad_u64_u32 v[4:5], s[4:5], v9, v3, 0
	v_add3_u32 v5, v5, v15, v13
	v_mad_u64_u32 v[18:19], s[4:5], v7, v4, 0
	v_mad_u64_u32 v[20:21], s[4:5], v3, v5, 0
	v_mul_hi_u32 v4, v3, v4
	v_add_co_u32_e32 v4, vcc, v4, v20
	v_mad_u64_u32 v[16:17], s[4:5], v7, v5, 0
	v_addc_co_u32_e32 v5, vcc, 0, v21, vcc
	v_add_co_u32_e32 v4, vcc, v4, v18
	v_addc_co_u32_e32 v4, vcc, v5, v19, vcc
	v_addc_co_u32_e32 v5, vcc, 0, v17, vcc
	v_add_co_u32_e32 v4, vcc, v4, v16
	v_addc_co_u32_e32 v5, vcc, 0, v5, vcc
	v_add_co_u32_e32 v3, vcc, v3, v4
	v_addc_co_u32_e32 v7, vcc, v7, v5, vcc
	v_accvgpr_read_b32 v15, a4
	v_mad_u64_u32 v[4:5], s[4:5], v15, v7, 0
	v_mul_hi_u32 v9, v15, v3
	v_add_co_u32_e32 v9, vcc, v9, v4
	v_accvgpr_read_b32 v18, a5
	v_addc_co_u32_e32 v13, vcc, 0, v5, vcc
	v_mad_u64_u32 v[16:17], s[4:5], v18, v3, 0
	v_add_co_u32_e32 v3, vcc, v9, v16
	v_mad_u64_u32 v[4:5], s[4:5], v18, v7, 0
	v_addc_co_u32_e32 v3, vcc, v13, v17, vcc
	v_addc_co_u32_e32 v5, vcc, 0, v5, vcc
	v_add_co_u32_e32 v3, vcc, v3, v4
	v_addc_co_u32_e32 v7, vcc, 0, v5, vcc
	v_mul_lo_u32 v9, v37, v3
	v_mul_lo_u32 v13, v42, v7
	v_mad_u64_u32 v[4:5], s[4:5], v42, v3, 0
	v_add3_u32 v5, v5, v13, v9
	v_sub_u32_e32 v9, v18, v5
	v_sub_co_u32_e32 v4, vcc, v15, v4
	v_subb_co_u32_e64 v9, s[4:5], v9, v37, vcc
	v_sub_co_u32_e64 v13, s[4:5], v4, v42
	v_subbrev_co_u32_e64 v9, s[4:5], 0, v9, s[4:5]
	v_cmp_ge_u32_e64 s[4:5], v9, v37
	v_cndmask_b32_e64 v15, 0, -1, s[4:5]
	v_cmp_ge_u32_e64 s[4:5], v13, v42
	v_cndmask_b32_e64 v13, 0, -1, s[4:5]
	v_cmp_eq_u32_e64 s[4:5], v9, v37
	v_cndmask_b32_e64 v9, v15, v13, s[4:5]
	v_add_co_u32_e64 v13, s[4:5], 2, v3
	v_addc_co_u32_e64 v15, s[4:5], 0, v7, s[4:5]
	v_add_co_u32_e64 v16, s[4:5], 1, v3
	v_addc_co_u32_e64 v17, s[4:5], 0, v7, s[4:5]
	v_subb_co_u32_e32 v5, vcc, v18, v5, vcc
	v_cmp_ne_u32_e64 s[4:5], 0, v9
	v_cmp_ge_u32_e32 vcc, v5, v37
	v_cndmask_b32_e64 v9, v17, v15, s[4:5]
	v_cndmask_b32_e64 v15, 0, -1, vcc
	v_cmp_ge_u32_e32 vcc, v4, v42
	v_cndmask_b32_e64 v4, 0, -1, vcc
	v_cmp_eq_u32_e32 vcc, v5, v37
	v_cndmask_b32_e32 v4, v15, v4, vcc
	v_cmp_ne_u32_e32 vcc, 0, v4
	v_cndmask_b32_e64 v4, v16, v13, s[4:5]
	v_cndmask_b32_e32 v29, v7, v9, vcc
	v_cndmask_b32_e32 v28, v3, v4, vcc
.LBB2_10:
	s_or_saveexec_b64 s[4:5], s[6:7]
	v_mad_u64_u32 v[4:5], s[6:7], v12, v2, 0
	s_xor_b64 exec, exec, s[4:5]
	s_cbranch_execz .LBB2_12
; %bb.11:
	v_cvt_f32_u32_e32 v2, v42
	v_sub_u32_e32 v3, 0, v42
	v_accvgpr_read_b32 v7, a4
	v_mov_b32_e32 v29, 0
	v_rcp_iflag_f32_e32 v2, v2
	v_mul_f32_e32 v2, 0x4f7ffffe, v2
	v_cvt_u32_f32_e32 v2, v2
	v_mul_lo_u32 v3, v3, v2
	v_mul_hi_u32 v3, v2, v3
	v_add_u32_e32 v2, v2, v3
	v_mul_hi_u32 v2, v7, v2
	v_mul_lo_u32 v3, v2, v42
	v_sub_u32_e32 v3, v7, v3
	v_add_u32_e32 v4, 1, v2
	v_sub_u32_e32 v7, v3, v42
	v_cmp_ge_u32_e32 vcc, v3, v42
	v_cndmask_b32_e32 v3, v3, v7, vcc
	v_cndmask_b32_e32 v2, v2, v4, vcc
	v_add_u32_e32 v4, 1, v2
	v_cmp_ge_u32_e32 vcc, v3, v42
	v_cndmask_b32_e32 v28, v2, v4, vcc
.LBB2_12:
	s_or_b64 exec, exec, s[4:5]
	v_sub_u32_e32 v2, v11, v10
	v_add_u16_e32 v2, 1, v2
	v_lshrrev_b16_e32 v3, 15, v2
	v_add_u16_e32 v2, v2, v3
	v_ashrrev_i16_e32 v2, 1, v2
	v_bfe_i32 v30, v2, 0, 16
	v_ashrrev_i32_e32 v7, 31, v30
	v_or_b32_e32 v3, v29, v7
	v_mov_b32_e32 v2, 0
	v_cmp_ne_u64_e32 vcc, 0, v[2:3]
                                        ; implicit-def: $vgpr38_vgpr39
	s_and_saveexec_b64 s[4:5], vcc
	s_xor_b64 s[6:7], exec, s[4:5]
	s_cbranch_execz .LBB2_14
; %bb.13:
	v_mov_b32_e32 v2, v7
	v_mov_b32_e32 v3, v7
	v_add_co_u32_e32 v4, vcc, v30, v2
	v_addc_co_u32_e32 v7, vcc, v7, v3, vcc
	v_xor_b32_e32 v7, v7, v3
	v_xor_b32_e32 v4, v4, v2
	v_cvt_f32_u32_e32 v9, v4
	v_cvt_f32_u32_e32 v10, v7
	v_sub_co_u32_e32 v13, vcc, 0, v4
	v_subb_co_u32_e32 v15, vcc, 0, v7, vcc
	v_madmk_f32 v9, v10, 0x4f800000, v9
	v_rcp_f32_e32 v9, v9
	v_mul_f32_e32 v9, 0x5f7ffffc, v9
	v_mul_f32_e32 v10, 0x2f800000, v9
	v_trunc_f32_e32 v10, v10
	v_madmk_f32 v9, v10, 0xcf800000, v9
	v_cvt_u32_f32_e32 v9, v9
	v_cvt_u32_f32_e32 v18, v10
	v_mul_lo_u32 v16, v15, v9
	v_mad_u64_u32 v[10:11], s[4:5], v13, v9, 0
	v_mul_lo_u32 v17, v13, v18
	v_add3_u32 v11, v11, v17, v16
	v_mad_u64_u32 v[16:17], s[4:5], v9, v11, 0
	v_mul_hi_u32 v19, v9, v10
	v_add_co_u32_e32 v19, vcc, v19, v16
	v_addc_co_u32_e32 v20, vcc, 0, v17, vcc
	v_mad_u64_u32 v[16:17], s[4:5], v18, v11, 0
	v_mad_u64_u32 v[10:11], s[4:5], v18, v10, 0
	v_add_co_u32_e32 v10, vcc, v19, v10
	v_addc_co_u32_e32 v10, vcc, v20, v11, vcc
	v_addc_co_u32_e32 v11, vcc, 0, v17, vcc
	v_add_co_u32_e32 v10, vcc, v10, v16
	v_addc_co_u32_e32 v11, vcc, 0, v11, vcc
	v_add_co_u32_e32 v9, vcc, v9, v10
	v_addc_co_u32_e32 v22, vcc, v18, v11, vcc
	v_mul_lo_u32 v16, v13, v22
	v_mul_lo_u32 v15, v15, v9
	v_mad_u64_u32 v[10:11], s[4:5], v13, v9, 0
	v_add3_u32 v11, v11, v16, v15
	v_mad_u64_u32 v[18:19], s[4:5], v22, v10, 0
	v_mad_u64_u32 v[20:21], s[4:5], v9, v11, 0
	v_mul_hi_u32 v10, v9, v10
	v_add_co_u32_e32 v10, vcc, v10, v20
	v_mad_u64_u32 v[16:17], s[4:5], v22, v11, 0
	v_addc_co_u32_e32 v11, vcc, 0, v21, vcc
	v_add_co_u32_e32 v10, vcc, v10, v18
	v_addc_co_u32_e32 v10, vcc, v11, v19, vcc
	v_addc_co_u32_e32 v11, vcc, 0, v17, vcc
	v_add_co_u32_e32 v10, vcc, v10, v16
	v_addc_co_u32_e32 v11, vcc, 0, v11, vcc
	v_add_co_u32_e32 v9, vcc, v9, v10
	v_addc_co_u32_e32 v13, vcc, v22, v11, vcc
	v_ashrrev_i32_e32 v15, 31, v29
	v_add_co_u32_e32 v10, vcc, v28, v15
	v_addc_co_u32_e32 v11, vcc, v29, v15, vcc
	v_xor_b32_e32 v19, v10, v15
	v_xor_b32_e32 v18, v11, v15
	v_mad_u64_u32 v[10:11], s[4:5], v19, v13, 0
	v_mul_hi_u32 v16, v19, v9
	v_add_co_u32_e32 v20, vcc, v16, v10
	v_addc_co_u32_e32 v21, vcc, 0, v11, vcc
	v_mad_u64_u32 v[16:17], s[4:5], v18, v9, 0
	v_add_co_u32_e32 v9, vcc, v20, v16
	v_mad_u64_u32 v[10:11], s[4:5], v18, v13, 0
	v_addc_co_u32_e32 v9, vcc, v21, v17, vcc
	v_addc_co_u32_e32 v11, vcc, 0, v11, vcc
	v_add_co_u32_e32 v9, vcc, v9, v10
	v_addc_co_u32_e32 v13, vcc, 0, v11, vcc
	v_mul_lo_u32 v16, v7, v9
	v_mul_lo_u32 v17, v4, v13
	v_mad_u64_u32 v[10:11], s[4:5], v4, v9, 0
	v_add3_u32 v11, v11, v17, v16
	v_sub_u32_e32 v16, v18, v11
	v_sub_co_u32_e32 v10, vcc, v19, v10
	v_subb_co_u32_e64 v16, s[4:5], v16, v7, vcc
	v_sub_co_u32_e64 v17, s[4:5], v10, v4
	v_subbrev_co_u32_e64 v16, s[4:5], 0, v16, s[4:5]
	v_cmp_ge_u32_e64 s[4:5], v16, v7
	v_cndmask_b32_e64 v19, 0, -1, s[4:5]
	v_cmp_ge_u32_e64 s[4:5], v17, v4
	v_cndmask_b32_e64 v17, 0, -1, s[4:5]
	v_cmp_eq_u32_e64 s[4:5], v16, v7
	v_cndmask_b32_e64 v16, v19, v17, s[4:5]
	v_add_co_u32_e64 v17, s[4:5], 2, v9
	v_subb_co_u32_e32 v11, vcc, v18, v11, vcc
	v_addc_co_u32_e64 v19, s[4:5], 0, v13, s[4:5]
	v_cmp_ge_u32_e32 vcc, v11, v7
	v_add_co_u32_e64 v20, s[4:5], 1, v9
	v_cndmask_b32_e64 v18, 0, -1, vcc
	v_cmp_ge_u32_e32 vcc, v10, v4
	v_addc_co_u32_e64 v21, s[4:5], 0, v13, s[4:5]
	v_cndmask_b32_e64 v4, 0, -1, vcc
	v_cmp_eq_u32_e32 vcc, v11, v7
	v_cmp_ne_u32_e64 s[4:5], 0, v16
	v_cndmask_b32_e32 v4, v18, v4, vcc
	v_cmp_ne_u32_e32 vcc, 0, v4
	v_cndmask_b32_e64 v7, v20, v17, s[4:5]
	v_cndmask_b32_e64 v16, v21, v19, s[4:5]
	v_cndmask_b32_e32 v7, v9, v7, vcc
	v_xor_b32_e32 v2, v15, v2
	v_cndmask_b32_e32 v4, v13, v16, vcc
	v_xor_b32_e32 v3, v15, v3
	v_xor_b32_e32 v7, v7, v2
	;; [unrolled: 1-line block ×3, first 2 shown]
	v_sub_co_u32_e32 v38, vcc, v7, v2
	v_subb_co_u32_e32 v39, vcc, v4, v3, vcc
.LBB2_14:
	s_andn2_saveexec_b64 s[4:5], s[6:7]
	s_cbranch_execz .LBB2_16
; %bb.15:
	v_cvt_f32_u32_e32 v2, v30
	v_sub_u32_e32 v3, 0, v30
	v_mov_b32_e32 v39, 0
	v_rcp_iflag_f32_e32 v2, v2
	v_mul_f32_e32 v2, 0x4f7ffffe, v2
	v_cvt_u32_f32_e32 v2, v2
	v_mul_lo_u32 v3, v3, v2
	v_mul_hi_u32 v3, v2, v3
	v_add_u32_e32 v2, v2, v3
	v_mul_hi_u32 v2, v28, v2
	v_mul_lo_u32 v3, v2, v30
	v_sub_u32_e32 v3, v28, v3
	v_add_u32_e32 v4, 1, v2
	v_sub_u32_e32 v7, v3, v30
	v_cmp_ge_u32_e32 vcc, v3, v30
	v_cndmask_b32_e32 v3, v3, v7, vcc
	v_cndmask_b32_e32 v2, v2, v4, vcc
	v_add_u32_e32 v4, 1, v2
	v_cmp_ge_u32_e32 vcc, v3, v30
	v_cndmask_b32_e32 v38, v2, v4, vcc
.LBB2_16:
	s_or_b64 exec, exec, s[4:5]
	v_mul_lo_u32 v2, v5, v8
	v_sub_u32_e32 v4, v12, v2
	s_trap 2
	ds_read_b64 v[2:3], v0
	v_sub_u32_e32 v7, v4, v8
	v_cmp_ge_u32_e64 s[4:5], v4, v8
	v_cndmask_b32_e64 v4, v4, v7, s[4:5]
	v_cmp_ge_u32_e64 s[6:7], v4, v8
	s_waitcnt lgkmcnt(0)
	v_cmp_ne_u32_e32 vcc, -1, v2
	v_cndmask_b32_e64 v13, 0, 1, vcc
	v_cmp_ne_u32_e32 vcc, -1, v3
	v_addc_co_u32_e64 v3, s[10:11], 0, v13, vcc
	v_lshlrev_b32_e32 v2, 1, v3
	v_accvgpr_read_b32 v4, a0
	v_cmp_le_i32_e64 s[10:11], v2, v4
	s_and_saveexec_b64 s[14:15], s[10:11]
	s_xor_b64 s[24:25], exec, s[14:15]
	s_cbranch_execz .LBB2_654
; %bb.17:
	flat_load_dwordx4 v[8:11], v[50:51] offset:16
	s_trap 2
	s_load_dword s10, s[8:9], 0x0
	v_mov_b32_e32 v2, 0
	v_sub_u32_e32 v4, 0, v1
	v_add_u32_e32 v7, 1, v5
	v_cndmask_b32_e64 v5, v5, v7, s[4:5]
	s_waitcnt lgkmcnt(0)
	s_cmp_lt_u32 s12, s10
	s_cselect_b32 s10, 12, 18
	s_add_u32 s10, s8, s10
	s_addc_u32 s11, s9, 0
	global_load_ushort a6, v2, s[10:11]
	v_cvt_f32_u32_e32 v2, v1
	v_ashrrev_i32_e32 v15, 31, v14
	v_add_u32_e32 v7, 1, v5
	v_cndmask_b32_e64 v5, v5, v7, s[6:7]
	v_rcp_iflag_f32_e32 v2, v2
	ds_read_b32 v7, v0
	v_accvgpr_write_b32 a1, v31
	v_cmp_ge_i32_e64 s[4:5], v0, v13
	v_mul_f32_e32 v2, 0x4f7ffffe, v2
	v_cvt_u32_f32_e32 v2, v2
	s_waitcnt lgkmcnt(0)
	v_readfirstlane_b32 s14, v7
	v_mov_b32_e32 v55, 4
	v_mul_lo_u32 v4, v4, v2
	v_mul_hi_u32 v4, v2, v4
	v_add_u32_e32 v2, v2, v4
	v_bfe_i32 v4, v1, 30, 1
	v_xor_b32_e32 v4, v15, v4
	v_xor_b32_e32 v5, v5, v4
	v_sub_u32_e32 v29, v5, v4
	v_mul_lo_u32 v4, v29, v6
	v_sub_u32_e32 v24, v14, v4
	v_sub_u32_e32 v4, 0, v24
	s_and_saveexec_b64 s[6:7], s[4:5]
	s_cbranch_execz .LBB2_27
; %bb.18:
	v_cmp_le_u32_e64 s[4:5], v3, v0
                                        ; implicit-def: $vgpr55
	s_and_saveexec_b64 s[10:11], s[4:5]
	s_xor_b64 s[4:5], exec, s[10:11]
	s_cbranch_execz .LBB2_24
; %bb.19:
	v_cndmask_b32_e64 v5, 0, 1, vcc
	v_accvgpr_read_b32 v6, a0
	v_sub_u32_e32 v5, v6, v5
	v_cmp_ge_u32_e32 vcc, v0, v5
                                        ; implicit-def: $sgpr12
	s_and_saveexec_b64 s[10:11], vcc
	s_xor_b64 s[10:11], exec, s[10:11]
; %bb.20:
	s_mov_b32 s12, 16
                                        ; implicit-def: $vgpr3
; %bb.21:
	s_or_saveexec_b64 s[10:11], s[10:11]
	v_mov_b32_e32 v55, s12
	s_xor_b64 exec, exec, s[10:11]
; %bb.22:
	v_accvgpr_read_b32 v5, a0
	v_sub_u32_e32 v3, v5, v3
	v_cmp_ge_i32_e32 vcc, v0, v3
	v_cndmask_b32_e64 v3, 0, 1, vcc
	v_lshlrev_b32_e32 v55, 5, v3
; %bb.23:
	s_or_b64 exec, exec, s[10:11]
.LBB2_24:
	s_andn2_saveexec_b64 s[4:5], s[4:5]
; %bb.25:
	v_mov_b32_e32 v55, 8
; %bb.26:
	s_or_b64 exec, exec, s[4:5]
.LBB2_27:
	s_or_b64 exec, exec, s[6:7]
	v_and_b32_e32 v3, 36, v55
	v_max_i32_e32 v14, v24, v4
	v_cmp_ne_u32_e32 vcc, 0, v3
	v_mov_b32_e32 v6, -1
	s_and_saveexec_b64 s[4:5], vcc
	s_cbranch_execz .LBB2_29
; %bb.28:
	s_trap 2
	ds_read_b32 v6, v0
.LBB2_29:
	s_or_b64 exec, exec, s[4:5]
	v_mad_u64_u32 v[32:33], s[4:5], v12, v2, 0
	v_mad_u64_u32 v[20:21], s[4:5], v14, v2, 0
	v_and_b32_e32 v2, 24, v55
	v_cmp_ne_u32_e64 s[4:5], 0, v2
	s_and_saveexec_b64 s[6:7], s[4:5]
	s_cbranch_execz .LBB2_31
; %bb.30:
	s_trap 2
	s_waitcnt lgkmcnt(0)
	ds_read_b32 v6, v0
.LBB2_31:
	s_or_b64 exec, exec, s[6:7]
	v_pk_mov_b32 v[2:3], 0, 0
	v_accvgpr_write_b32 a11, v3
	s_waitcnt lgkmcnt(0)
	v_ashrrev_i32_e32 v7, 31, v6
	v_accvgpr_write_b32 a10, v2
	v_pk_mov_b32 v[4:5], v[2:3], v[2:3] op_sel:[0,1]
                                        ; implicit-def: $agpr8_agpr9
                                        ; implicit-def: $vgpr20
                                        ; implicit-def: $vgpr26_vgpr27
                                        ; implicit-def: $vgpr16_vgpr17
                                        ; implicit-def: $vgpr22_vgpr23
                                        ; implicit-def: $vgpr18_vgpr19
	s_and_saveexec_b64 s[4:5], vcc
	s_cbranch_execz .LBB2_41
; %bb.32:
	s_trap 2
	ds_read_b64 v[2:3], v0
	v_lshlrev_b64 v[4:5], 3, v[6:7]
                                        ; implicit-def: $agpr8_agpr9
	s_waitcnt lgkmcnt(0)
	v_add_co_u32_e32 v2, vcc, v2, v4
	v_addc_co_u32_e32 v3, vcc, v3, v5, vcc
	flat_load_dwordx2 v[2:3], v[2:3]
	s_waitcnt vmcnt(0) lgkmcnt(0)
	flat_load_dword v4, v[2:3] offset:640
	s_waitcnt vmcnt(0) lgkmcnt(0)
	v_cmp_eq_u32_e32 vcc, 1, v4
	s_and_saveexec_b64 s[6:7], vcc
	s_cbranch_execz .LBB2_34
; %bb.33:
	flat_load_dwordx2 v[16:17], v[2:3] offset:648
	v_or_b32_e32 v55, 0x2000, v55
	s_waitcnt vmcnt(0) lgkmcnt(0)
	flat_load_dwordx2 v[4:5], v[16:17]
	s_trap 2
	v_accvgpr_write_b32 a8, v16
	v_accvgpr_write_b32 a9, v17
	s_waitcnt vmcnt(0) lgkmcnt(0)
	ds_write_b64 v0, v[4:5]
	flat_load_dwordx2 v[4:5], v[16:17] offset:8
	s_waitcnt vmcnt(0) lgkmcnt(0)
	ds_write_b64 v0, v[4:5]
	flat_load_dwordx2 v[4:5], v[16:17] offset:16
	s_waitcnt vmcnt(0) lgkmcnt(0)
	ds_write_b64 v0, v[4:5]
.LBB2_34:
	s_or_b64 exec, exec, s[6:7]
	flat_load_dwordx2 v[4:5], v[2:3] offset:608
	v_and_b32_e32 v18, 32, v55
	s_waitcnt vmcnt(0) lgkmcnt(0)
	v_add_co_u32_e32 v4, vcc, 3, v4
	v_addc_co_u32_e32 v17, vcc, 0, v5, vcc
	v_and_b32_e32 v16, -4, v4
	v_cmp_ne_u32_e32 vcc, 0, v18
                                        ; implicit-def: $vgpr18_vgpr19
	s_and_saveexec_b64 s[6:7], vcc
	s_cbranch_execz .LBB2_36
; %bb.35:
	flat_load_dwordx2 v[18:19], v[2:3] offset:560
	s_waitcnt vmcnt(0) lgkmcnt(0)
	flat_store_dwordx2 v[18:19], v[16:17]
.LBB2_36:
	s_or_b64 exec, exec, s[6:7]
	v_add_co_u32_e32 v4, vcc, 0x1f8, v2
	v_addc_co_u32_e32 v5, vcc, 0, v3, vcc
	v_accvgpr_write_b32 a11, v5
	v_accvgpr_write_b32 a10, v4
	v_and_b32_e32 v4, 4, v55
	v_cmp_ne_u32_e32 vcc, 0, v4
	v_pk_mov_b32 v[4:5], 0, 0
                                        ; implicit-def: $vgpr20
                                        ; implicit-def: $vgpr26_vgpr27
                                        ; implicit-def: $vgpr22_vgpr23
	s_and_saveexec_b64 s[6:7], vcc
	s_cbranch_execz .LBB2_40
; %bb.37:
	v_and_b32_e32 v4, 0x800, v55
	v_cmp_eq_u32_e32 vcc, 0, v4
	s_and_saveexec_b64 s[10:11], vcc
	s_cbranch_execz .LBB2_39
; %bb.38:
	s_trap 2
	ds_write_b64 v0, a[10:11]
.LBB2_39:
	s_or_b64 exec, exec, s[10:11]
	flat_load_dwordx2 v[18:19], v[2:3] offset:552
	s_waitcnt vmcnt(0) lgkmcnt(0)
	flat_load_dwordx2 v[26:27], v[18:19] glc
	flat_load_dwordx2 v[4:5], v[2:3] offset:600
	flat_load_dword v20, v[2:3] offset:576
	flat_load_dwordx2 v[22:23], v[2:3] offset:520
	v_or_b32_e32 v2, 0x100, v55
	s_waitcnt vmcnt(0) lgkmcnt(0)
	v_cmp_eq_u64_e32 vcc, 0, v[4:5]
	v_cndmask_b32_e32 v55, v2, v55, vcc
.LBB2_40:
	s_or_b64 exec, exec, s[6:7]
.LBB2_41:
	s_or_b64 exec, exec, s[4:5]
	v_and_b32_e32 v3, 24, v55
	v_ashrrev_i32_e32 v2, 31, v24
	v_cmp_ne_u32_e32 vcc, 0, v3
                                        ; implicit-def: $vgpr24_vgpr25
	s_and_saveexec_b64 s[4:5], vcc
	s_cbranch_execz .LBB2_49
; %bb.42:
	s_trap 2
	ds_read_b64 v[4:5], v0
	v_lshlrev_b64 v[6:7], 3, v[6:7]
	v_or_b32_e32 v3, 0x100, v55
                                        ; implicit-def: $vgpr24_vgpr25
	s_waitcnt lgkmcnt(0)
	v_add_co_u32_e32 v4, vcc, v4, v6
	v_addc_co_u32_e32 v5, vcc, v5, v7, vcc
	flat_load_dwordx2 v[4:5], v[4:5]
	s_waitcnt vmcnt(0) lgkmcnt(0)
	v_accvgpr_write_b32 a11, v5
	v_accvgpr_write_b32 a10, v4
	flat_load_dwordx4 v[4:7], v[4:5] offset:96
	s_waitcnt vmcnt(0) lgkmcnt(0)
	v_cmp_eq_u64_e32 vcc, 0, v[4:5]
	v_cndmask_b32_e32 v55, v3, v55, vcc
	v_and_b32_e32 v3, 16, v55
	v_cmp_ne_u32_e32 vcc, 0, v3
	s_and_saveexec_b64 s[6:7], vcc
	s_cbranch_execz .LBB2_44
; %bb.43:
	v_accvgpr_read_b32 v17, a11
	v_accvgpr_read_b32 v16, a10
	flat_load_dwordx2 v[24:25], v[16:17] offset:120
	flat_load_dwordx2 v[18:19], v[16:17] offset:48
	;; [unrolled: 1-line block ×3, first 2 shown]
.LBB2_44:
	s_or_b64 exec, exec, s[6:7]
	v_add_co_u32_e32 v3, vcc, 3, v6
	v_addc_co_u32_e32 v17, vcc, 0, v7, vcc
	v_and_b32_e32 v16, -4, v3
	v_and_b32_e32 v3, 8, v55
	v_cmp_ne_u32_e32 vcc, 0, v3
	s_and_saveexec_b64 s[6:7], vcc
	s_cbranch_execz .LBB2_48
; %bb.45:
	v_and_b32_e32 v3, 0x800, v55
	v_cmp_eq_u32_e32 vcc, 0, v3
	s_and_saveexec_b64 s[10:11], vcc
	s_cbranch_execz .LBB2_47
; %bb.46:
	v_accvgpr_read_b32 v6, a10
	s_trap 2
	v_accvgpr_read_b32 v7, a11
	ds_write_b64 v0, a[10:11]
.LBB2_47:
	s_or_b64 exec, exec, s[10:11]
	v_accvgpr_read_b32 v6, a10
	v_accvgpr_read_b32 v7, a11
	s_waitcnt vmcnt(0) lgkmcnt(0)
	flat_load_dwordx2 v[18:19], v[6:7] offset:56
	s_waitcnt vmcnt(0) lgkmcnt(0)
	flat_load_dwordx2 v[26:27], v[18:19] glc
	flat_load_dword v20, v[6:7] offset:72
	flat_load_dwordx2 v[22:23], v[6:7] offset:16
.LBB2_48:
	s_or_b64 exec, exec, s[6:7]
.LBB2_49:
	s_or_b64 exec, exec, s[4:5]
	v_cmp_eq_u32_e64 s[4:5], 0, v0
	s_and_saveexec_b64 s[6:7], s[4:5]
	s_cbranch_execz .LBB2_51
; %bb.50:
	s_waitcnt vmcnt(0)
	v_mov_b32_e32 v6, v10
	v_mov_b32_e32 v7, v11
	ds_write2_b64 v0, v[6:7], v[8:9] offset1:1
	v_mov_b32_e32 v6, 0
	v_mov_b32_e32 v7, v6
	s_trap 2
	ds_write_b64 v0, v[6:7]
.LBB2_51:
	s_or_b64 exec, exec, s[6:7]
	v_accvgpr_read_b32 v48, a0
	s_cmp_lt_i32 s66, -1
	s_waitcnt vmcnt(0)
	v_pk_mov_b32 v[10:11], 0, 0
	v_cmp_ne_u32_e64 s[6:7], 64, v48
	s_cbranch_scc1 .LBB2_618
; %bb.52:
	v_mul_lo_u32 v3, v33, v1
	v_sub_u32_e32 v3, v12, v3
	v_cmp_ge_u32_e32 vcc, v3, v1
	v_sub_u32_e32 v6, v3, v1
	v_cndmask_b32_e32 v3, v3, v6, vcc
	v_cmp_ge_u32_e32 vcc, v3, v1
	v_sub_u32_e32 v6, v3, v1
	v_cndmask_b32_e32 v3, v3, v6, vcc
	v_xor_b32_e32 v3, v3, v15
	v_sub_u32_e32 v6, v3, v15
	v_mad_u64_u32 v[8:9], s[10:11], v38, v30, 0
	v_mad_u64_u32 v[6:7], s[10:11], v29, v1, v[6:7]
	v_sub_co_u32_e32 v8, vcc, v28, v8
	v_min_i32_e32 v10, v6, v8
	v_ashrrev_i32_e32 v7, 31, v6
	v_ashrrev_i32_e32 v11, 31, v10
	v_mad_u64_u32 v[28:29], s[10:11], v38, v6, v[10:11]
	v_mul_lo_u32 v3, v38, v7
	v_mul_lo_u32 v10, v39, v6
	v_add3_u32 v9, v10, v29, v3
	v_cmp_lt_i32_e32 vcc, v6, v8
	v_mul_lo_u32 v9, v9, v42
	v_mul_lo_u32 v11, v28, v37
	v_mad_u64_u32 v[28:29], s[10:11], v28, v42, 0
	v_add3_u32 v29, v29, v11, v9
	v_cndmask_b32_e64 v9, 0, 1, vcc
	v_add_co_u32_e32 v9, vcc, v38, v9
	v_mul_lo_u32 v15, v21, v1
	v_addc_co_u32_e32 v11, vcc, 0, v39, vcc
	v_sub_u32_e32 v14, v14, v15
	v_cmp_ge_u32_e32 vcc, v14, v1
	v_add_u32_e32 v15, 1, v21
	v_cndmask_b32_e32 v15, v21, v15, vcc
	v_sub_u32_e32 v21, v14, v1
	v_cndmask_b32_e32 v14, v14, v21, vcc
	v_cmp_ge_u32_e32 vcc, v14, v1
	v_add_u32_e32 v1, 1, v15
	v_cndmask_b32_e32 v1, v15, v1, vcc
	v_accvgpr_write_b32 a12, v28
	v_xor_b32_e32 v1, v1, v2
	v_mov_b32_e32 v36, 0
	v_accvgpr_write_b32 a13, v29
	v_mul_lo_u32 v11, v11, v42
	v_mul_lo_u32 v12, v9, v37
	v_mad_u64_u32 v[28:29], s[10:11], v9, v42, 0
	v_sub_u32_e32 v1, v1, v2
	v_mov_b32_e32 v15, v36
	v_add3_u32 v29, v29, v12, v11
	v_and_b32_e32 v14, 0x3ffffe00, v34
	v_accvgpr_write_b32 a17, v15
	v_ashrrev_i32_e32 v2, 31, v1
	v_accvgpr_write_b32 a16, v14
	v_mul_lo_u32 v21, v29, v1
	v_mul_lo_u32 v2, v28, v2
	v_mul_hi_u32 v14, v28, v1
	s_lshr_b32 s10, s66, 31
	v_add3_u32 v14, v14, v2, v21
	s_add_i32 s10, s66, s10
	v_lshrrev_b32_e32 v14, 31, v14
	s_ashr_i32 s67, s10, 1
	v_mad_u64_u32 v[14:15], s[10:11], v28, v1, v[14:15]
	v_add3_u32 v15, v21, v15, v2
	v_ashrrev_i64 v[14:15], 1, v[14:15]
	v_accvgpr_write_b32 a19, v15
	v_accvgpr_write_b32 a18, v14
	v_lshrrev_b32_e32 v14, 31, v29
	v_mov_b32_e32 v15, v36
	v_cmp_eq_u32_e32 vcc, 0, v1
	v_mad_u64_u32 v[14:15], s[10:11], v9, v42, v[14:15]
	v_ashrrev_i32_e32 v1, 31, v0
	v_add3_u32 v15, v11, v15, v12
	v_lshrrev_b32_e32 v1, 26, v1
	v_accvgpr_write_b32 a14, v28
	v_ashrrev_i64 v[14:15], 1, v[14:15]
	v_add_u32_e32 v1, v0, v1
	v_lshrrev_b32_e32 v30, 6, v48
	v_accvgpr_write_b32 a15, v29
	v_sub_co_u32_e64 v28, s[10:11], 0, v14
	v_ashrrev_i32_e32 v34, 6, v1
	v_and_b32_e32 v1, 0xffffffc0, v1
	v_lshlrev_b32_e32 v52, 10, v30
	v_subb_co_u32_e64 v29, s[10:11], 0, v15, s[10:11]
	v_sub_u32_e32 v61, v0, v1
	v_add_u32_e32 v1, 0xfffffc00, v52
	s_movk_i32 s12, 0x400
	v_mad_u64_u32 v[32:33], s[10:11], v9, v42, v[28:29]
	v_ashrrev_i32_e32 v9, 31, v1
	v_add_co_u32_e64 v29, s[12:13], s12, v1
	v_addc_co_u32_e64 v62, s[12:13], 0, v9, s[12:13]
	v_mov_b32_e32 v1, 0xfffffe00
	v_lshl_add_u32 v1, v30, 9, v1
	s_movk_i32 s12, 0x200
	v_ashrrev_i32_e32 v9, 31, v1
	v_add_co_u32_e64 v31, s[12:13], s12, v1
	v_addc_co_u32_e64 v1, s[12:13], 0, v9, s[12:13]
	s_ashr_i32 s12, s14, 31
	v_accvgpr_read_b32 v9, a1
	s_lshr_b32 s12, s12, 25
	v_and_b32_e32 v9, 63, v9
	v_add3_u32 v2, v11, v33, v12
	s_add_i32 s14, s14, s12
	v_cmp_eq_u32_e64 s[12:13], 0, v9
	v_accvgpr_read_b32 v9, a6
	s_abs_i32 s69, s66
	v_cmp_ne_u32_sdwa s[28:29], v9, v48 src0_sel:WORD_0 src1_sel:DWORD
	v_cndmask_b32_e32 v9, v2, v15, vcc
	v_cvt_f32_u32_e32 v2, s69
	v_cndmask_b32_e32 v12, v32, v14, vcc
	s_sub_i32 s26, 0, s69
	v_accvgpr_write_b32 a21, v9
	v_rcp_iflag_f32_e32 v2, v2
	v_ashrrev_i32_e32 v9, 31, v8
	v_lshlrev_b32_e32 v44, 4, v0
	v_ashrrev_i32_e32 v45, 31, v44
	v_mul_f32_e32 v2, 0x4f7ffffe, v2
	v_cvt_u32_f32_e32 v2, v2
	v_accvgpr_write_b32 a2, v50
	s_mov_b32 s27, 0
	v_and_b32_e32 v54, 0xffffffc0, v48
	v_readfirstlane_b32 vcc_lo, v2
	s_mul_i32 s26, s26, vcc_lo
	s_mul_hi_u32 s26, vcc_lo, s26
	s_add_i32 s70, vcc_lo, s26
	v_cmp_lt_i64_e32 vcc, v[6:7], v[8:9]
	v_cndmask_b32_e32 v9, v9, v7, vcc
	v_cndmask_b32_e32 v8, v8, v6, vcc
	v_mad_u64_u32 v[6:7], vcc, v38, v6, v[8:9]
	v_add3_u32 v2, v10, v7, v3
	v_mul_lo_u32 v3, v6, v37
	v_mul_lo_u32 v2, v2, v42
	v_mad_u64_u32 v[6:7], vcc, v6, v42, v[44:45]
	v_add3_u32 v7, v2, v7, v3
	v_cmp_ge_i32_e64 s[22:23], v0, v48
	v_accvgpr_write_b32 a23, v7
	v_accvgpr_write_b32 a3, v51
	v_cmp_gt_i32_e64 s[10:11], 1, v61
	v_ashrrev_i32_e32 v35, 31, v34
	v_ashrrev_i32_e32 v21, 31, v54
	s_ashr_i32 s68, s14, 7
	s_waitcnt lgkmcnt(0)
	v_ashrrev_i32_e32 v53, 31, v20
	v_cmp_eq_u32_e64 s[14:15], 64, v48
	v_cmp_lt_i32_e64 s[16:17], v61, v13
	v_sub_u32_e32 v47, 0, v34
	v_cmp_eq_u64_e64 s[18:19], 0, v[24:25]
	v_cmp_ne_u64_e64 s[20:21], 0, v[24:25]
	v_accvgpr_write_b32 a20, v12
	v_accvgpr_write_b32 a22, v6
	v_pk_mov_b32 v[10:11], 0, 0
	s_xor_b64 s[30:31], s[22:23], -1
	s_movk_i32 s71, 0x270e
	v_mov_b32_e32 v56, 1
	s_movk_i32 s72, 0x108
	s_mov_b32 s26, s27
	v_accvgpr_write_b32 a7, v61
	s_trap 2
.LBB2_53:                               ; =>This Loop Header: Depth=1
                                        ;     Child Loop BB2_64 Depth 2
                                        ;     Child Loop BB2_71 Depth 2
	;; [unrolled: 1-line block ×5, first 2 shown]
                                        ;       Child Loop BB2_98 Depth 3
                                        ;         Child Loop BB2_106 Depth 4
                                        ;         Child Loop BB2_130 Depth 4
	;; [unrolled: 1-line block ×8, first 2 shown]
                                        ;       Child Loop BB2_218 Depth 3
                                        ;         Child Loop BB2_224 Depth 4
                                        ;         Child Loop BB2_248 Depth 4
                                        ;       Child Loop BB2_268 Depth 3
                                        ;         Child Loop BB2_272 Depth 4
                                        ;           Child Loop BB2_280 Depth 5
                                        ;           Child Loop BB2_308 Depth 5
	;; [unrolled: 1-line block ×8, first 2 shown]
                                        ;         Child Loop BB2_396 Depth 4
                                        ;           Child Loop BB2_402 Depth 5
                                        ;           Child Loop BB2_430 Depth 5
                                        ;       Child Loop BB2_450 Depth 3
                                        ;         Child Loop BB2_460 Depth 4
                                        ;         Child Loop BB2_482 Depth 4
	;; [unrolled: 1-line block ×8, first 2 shown]
                                        ;       Child Loop BB2_569 Depth 3
                                        ;         Child Loop BB2_575 Depth 4
                                        ;         Child Loop BB2_599 Depth 4
	s_sub_i32 s22, s66, s26
	s_ashr_i32 s23, s22, 31
	s_abs_i32 s22, s22
	s_mul_hi_u32 vcc_lo, s22, s70
	s_mul_i32 vcc_lo, vcc_lo, s69
	s_sub_i32 s22, s22, vcc_lo
	s_sub_i32 vcc_lo, s22, s69
	s_cmp_ge_u32 s22, s69
	s_cselect_b32 s22, vcc_lo, s22
	s_trap 2
	ds_read_b64 v[6:7], v0
	s_sub_i32 vcc_lo, s22, s69
	s_cmp_ge_u32 s22, s69
	s_cselect_b32 s22, vcc_lo, s22
	s_xor_b32 s22, s22, s23
	s_sub_i32 s22, s22, s23
	s_lshl_b64 vcc, s[26:27], 2
	s_ashr_i32 s23, s22, 31
	v_mov_b32_e32 v3, vcc_hi
	s_waitcnt lgkmcnt(0)
	v_add_co_u32_e32 v2, vcc, vcc_lo, v6
	s_lshl_b64 s[22:23], s[22:23], 2
	v_addc_co_u32_e32 v3, vcc, v7, v3, vcc
	v_mov_b32_e32 v8, s23
	v_add_co_u32_e32 v6, vcc, s22, v6
	v_addc_co_u32_e32 v7, vcc, v7, v8, vcc
	flat_load_dword v3, v[2:3]
	v_accvgpr_read_b32 v39, a13
	flat_load_dword v2, v[6:7]
	v_accvgpr_read_b32 v28, a4
	v_accvgpr_read_b32 v38, a12
	;; [unrolled: 1-line block ×5, first 2 shown]
	s_cmp_lg_u32 s26, 0
	s_cselect_b64 s[36:37], -1, 0
	s_and_b64 vcc, exec, s[36:37]
	s_waitcnt vmcnt(0) lgkmcnt(0)
	v_ashrrev_i32_e32 v14, 31, v3
	v_mad_u64_u32 v[6:7], s[22:23], v28, v3, v[38:39]
	v_ashrrev_i32_e32 v32, 31, v2
	v_cmp_eq_u32_e64 s[22:23], v2, v3
	v_mul_lo_u32 v15, v28, v14
	v_mul_lo_u32 v14, v28, v32
	v_accvgpr_read_b32 v33, a15
	v_mul_lo_u32 v12, v8, v3
	v_mul_lo_u32 v13, v8, v2
	v_mad_u64_u32 v[8:9], s[34:35], v28, v2, v[38:39]
	v_cndmask_b32_e64 v46, 0, v48, s[22:23]
	v_accvgpr_read_b32 v32, a14
	v_accvgpr_read_b32 v39, a21
	v_accvgpr_read_b32 v28, a20
	v_cndmask_b32_e64 v37, 0, v49, s[22:23]
	v_cndmask_b32_e64 v33, v33, v39, s[22:23]
	;; [unrolled: 1-line block ×3, first 2 shown]
	v_add3_u32 v7, v12, v7, v15
	v_add_co_u32_e64 v6, s[22:23], v6, v46
	v_accvgpr_write_b32 a26, v6
	v_addc_co_u32_e64 v6, s[22:23], v7, v37, s[22:23]
	v_add3_u32 v9, v13, v9, v14
	v_accvgpr_write_b32 a27, v6
	v_add_co_u32_e64 v6, s[22:23], v8, v46
	v_accvgpr_write_b32 a28, v6
	v_addc_co_u32_e64 v6, s[22:23], v9, v37, s[22:23]
	v_accvgpr_write_b32 a24, v32
	v_accvgpr_write_b32 a29, v6
	;; [unrolled: 1-line block ×3, first 2 shown]
	s_cbranch_vccz .LBB2_55
; %bb.54:                               ;   in Loop: Header=BB2_53 Depth=1
	v_accvgpr_read_b32 v8, a16
	v_accvgpr_read_b32 v9, a17
	s_and_saveexec_b64 s[34:35], s[36:37]
	s_cbranch_execnz .LBB2_88
	s_branch .LBB2_616
.LBB2_55:                               ;   in Loop: Header=BB2_53 Depth=1
	v_accvgpr_read_b32 v7, a3
	v_accvgpr_read_b32 v6, a2
	flat_load_dwordx4 v[48:51], v[6:7] offset:16
	s_mov_b64 s[36:37], -1
	s_waitcnt vmcnt(0) lgkmcnt(0)
	v_cmp_ne_u64_e32 vcc, v[50:51], v[48:49]
	s_mov_b64 s[22:23], exec
	v_accvgpr_read_b32 v8, a16
	s_and_b64 vcc, s[22:23], vcc
	v_accvgpr_read_b32 v9, a17
	s_mov_b64 exec, vcc
	s_cbranch_execz .LBB2_87
; %bb.56:                               ;   in Loop: Header=BB2_53 Depth=1
	s_mov_b64 vcc, -1
	s_and_saveexec_b64 s[34:35], s[10:11]
; %bb.57:                               ;   in Loop: Header=BB2_53 Depth=1
	v_accvgpr_read_b32 v6, a26
	v_accvgpr_read_b32 v7, a28
	v_add_u32_e32 v6, v50, v6
	v_add_u32_e32 v7, v48, v7
	v_or_b32_e32 v6, v6, v7
	v_and_b32_e32 v6, 15, v6
	v_cmp_eq_u32_e32 vcc, 0, v6
	s_orn2_b64 vcc, vcc, exec
; %bb.58:                               ;   in Loop: Header=BB2_53 Depth=1
	s_or_b64 exec, exec, s[34:35]
	v_accvgpr_read_b32 v6, a4
	s_xor_b64 vcc, vcc, -1
	v_mad_u64_u32 v[8:9], s[34:35], v6, v3, 0
	v_mad_u64_u32 v[40:41], s[34:35], v6, v2, 0
	v_cndmask_b32_e64 v2, 0, 1, vcc
	v_add3_u32 v57, v9, v15, v12
	v_add3_u32 v28, v41, v14, v13
	;;#ASMSTART
	;;#ASMEND
	v_cmp_ne_u32_e32 vcc, 0, v2
	s_cbranch_vccz .LBB2_60
; %bb.59:                               ;   in Loop: Header=BB2_53 Depth=1
	v_pk_mov_b32 v[12:13], 0, 0
	v_pk_mov_b32 v[60:61], v[32:33], v[32:33] op_sel:[0,1]
	v_mov_b32_e32 v59, v0
	v_mov_b32_e32 v2, v34
	v_pk_mov_b32 v[32:33], v[34:35], v[34:35] op_sel:[0,1]
	s_and_saveexec_b64 s[34:35], s[36:37]
	s_cbranch_execnz .LBB2_77
	s_branch .LBB2_86
.LBB2_60:                               ;   in Loop: Header=BB2_53 Depth=1
	v_ashrrev_i32_e32 v2, 31, v33
	v_lshrrev_b32_e32 v2, 22, v2
	v_add_co_u32_e32 v42, vcc, v32, v2
	v_addc_co_u32_e32 v43, vcc, 0, v33, vcc
	v_ashrrev_i64 v[12:13], 10, v[42:43]
	v_and_b32_e32 v42, 0xfffffc00, v42
	v_sub_co_u32_e32 v14, vcc, v32, v42
	v_subb_co_u32_e32 v15, vcc, v33, v43, vcc
	v_cmp_lt_i64_e32 vcc, 15, v[14:15]
	s_and_saveexec_b64 s[34:35], vcc
; %bb.61:                               ;   in Loop: Header=BB2_53 Depth=1
	v_add_co_u32_e32 v12, vcc, 1, v12
	v_addc_co_u32_e32 v13, vcc, 0, v13, vcc
	v_and_b32_e32 v2, 15, v32
	v_sub_co_u32_e32 v6, vcc, v42, v2
	v_subbrev_co_u32_e32 v7, vcc, 0, v43, vcc
	v_mov_b32_e32 v3, v36
	v_add_co_u32_e32 v42, vcc, v6, v14
	v_addc_co_u32_e32 v43, vcc, v7, v15, vcc
	v_pk_mov_b32 v[14:15], v[2:3], v[2:3] op_sel:[0,1]
; %bb.62:                               ;   in Loop: Header=BB2_53 Depth=1
	s_or_b64 exec, exec, s[34:35]
	v_sub_co_u32_e32 v2, vcc, v32, v44
	v_subb_co_u32_e32 v3, vcc, v33, v45, vcc
	v_sub_co_u32_e32 v38, vcc, v12, v34
	v_subb_co_u32_e32 v39, vcc, v13, v35, vcc
	v_cmp_lt_i64_e32 vcc, 15, v[2:3]
	s_and_saveexec_b64 s[34:35], vcc
	s_cbranch_execz .LBB2_66
; %bb.63:                               ;   in Loop: Header=BB2_53 Depth=1
	v_add_co_u32_e32 v32, vcc, v50, v8
	v_addc_co_u32_e32 v33, vcc, v51, v57, vcc
	v_accvgpr_read_b32 v6, a22
	v_accvgpr_read_b32 v7, a23
	v_add_co_u32_e32 v12, vcc, v6, v46
	v_addc_co_u32_e32 v13, vcc, v7, v37, vcc
	v_accvgpr_write_b32 a30, v40
	v_add_co_u32_e32 v40, vcc, v48, v40
	v_pk_mov_b32 v[60:61], v[50:51], v[50:51] op_sel:[0,1]
	v_accvgpr_write_b32 a32, v8
	v_pk_mov_b32 v[58:59], v[48:49], v[48:49] op_sel:[0,1]
	v_addc_co_u32_e32 v41, vcc, v49, v28, vcc
	s_mov_b64 s[36:37], 0
.LBB2_64:                               ;   Parent Loop BB2_53 Depth=1
                                        ; =>  This Inner Loop Header: Depth=2
	v_add_co_u32_e32 v6, vcc, v32, v12
	v_addc_co_u32_e32 v7, vcc, v33, v13, vcc
	global_load_dwordx4 v[6:9], v[6:7], off glc slc
	v_add_co_u32_e32 v48, vcc, v40, v12
	v_addc_co_u32_e32 v49, vcc, v41, v13, vcc
	v_sub_co_u32_e32 v2, vcc, v2, v52
	v_subbrev_co_u32_e32 v3, vcc, 0, v3, vcc
	v_sub_co_u32_e32 v38, vcc, v38, v30
	v_subbrev_co_u32_e32 v39, vcc, 0, v39, vcc
	v_add_co_u32_e32 v12, vcc, v12, v29
	v_addc_co_u32_e32 v13, vcc, v13, v62, vcc
	v_cmp_gt_i64_e32 vcc, 16, v[2:3]
	s_or_b64 s[36:37], vcc, s[36:37]
	s_waitcnt vmcnt(0)
	global_store_dwordx4 v[48:49], v[6:9], off glc slc
	s_andn2_b64 exec, exec, s[36:37]
	s_cbranch_execnz .LBB2_64
; %bb.65:                               ;   in Loop: Header=BB2_53 Depth=1
	s_or_b64 exec, exec, s[36:37]
	v_pk_mov_b32 v[48:49], v[58:59], v[58:59] op_sel:[0,1]
	v_pk_mov_b32 v[50:51], v[60:61], v[60:61] op_sel:[0,1]
	v_accvgpr_read_b32 v40, a30
	v_accvgpr_read_b32 v8, a32
.LBB2_66:                               ;   in Loop: Header=BB2_53 Depth=1
	s_or_b64 exec, exec, s[34:35]
	s_mov_b64 s[36:37], 0
	v_cmp_ne_u64_e32 vcc, 0, v[14:15]
	v_pk_mov_b32 v[12:13], 0, 0
                                        ; implicit-def: $vgpr60_vgpr61
                                        ; implicit-def: $vgpr59
                                        ; implicit-def: $vgpr2
                                        ; implicit-def: $vgpr32_vgpr33
	s_and_saveexec_b64 s[34:35], vcc
	s_cbranch_execz .LBB2_76
; %bb.67:                               ;   in Loop: Header=BB2_53 Depth=1
	v_ashrrev_i32_e32 v2, 31, v15
	v_lshrrev_b32_e32 v2, 22, v2
	v_add_co_u32_e32 v2, vcc, v14, v2
	v_addc_co_u32_e32 v3, vcc, 0, v15, vcc
	v_ashrrev_i64 v[12:13], 10, v[2:3]
	v_and_b32_e32 v2, 0xfffffc00, v2
	v_mov_b32_e32 v58, v40
	v_add_co_u32_e32 v40, vcc, v2, v42
	v_addc_co_u32_e32 v41, vcc, v3, v43, vcc
	v_sub_co_u32_e32 v60, vcc, v14, v2
	v_subb_co_u32_e32 v61, vcc, v15, v3, vcc
	v_cmp_lt_i64_e32 vcc, 15, v[60:61]
	s_and_saveexec_b64 s[36:37], vcc
; %bb.68:                               ;   in Loop: Header=BB2_53 Depth=1
	v_add_co_u32_e32 v12, vcc, 1, v12
	v_addc_co_u32_e32 v13, vcc, 0, v13, vcc
	v_and_b32_e32 v2, 15, v14
	v_sub_co_u32_e32 v6, vcc, v60, v2
	v_subbrev_co_u32_e32 v7, vcc, 0, v61, vcc
	v_mov_b32_e32 v3, v36
	v_add_co_u32_e32 v40, vcc, v6, v40
	v_addc_co_u32_e32 v41, vcc, v7, v41, vcc
	v_pk_mov_b32 v[60:61], v[2:3], v[2:3] op_sel:[0,1]
; %bb.69:                               ;   in Loop: Header=BB2_53 Depth=1
	s_or_b64 exec, exec, s[36:37]
	v_cmp_lt_i64_e32 vcc, 0, v[38:39]
	v_cndmask_b32_e32 v2, 0, v30, vcc
	v_sub_u32_e32 v2, v2, v38
	v_accvgpr_read_b32 v3, a7
	v_lshl_add_u32 v2, v2, 6, v3
	v_ashrrev_i32_e32 v3, 31, v2
	v_lshrrev_b32_e32 v3, 26, v3
	v_add_u32_e32 v3, v2, v3
	v_ashrrev_i32_e32 v6, 6, v3
	v_and_b32_e32 v3, 0xffffffc0, v3
	v_sub_u32_e32 v38, v2, v3
	v_lshlrev_b32_e32 v2, 4, v38
	v_lshl_add_u32 v32, v6, 10, v2
	v_ashrrev_i32_e32 v33, 31, v32
	v_sub_co_u32_e32 v2, vcc, v14, v32
	v_subb_co_u32_e32 v3, vcc, v15, v33, vcc
	v_ashrrev_i32_e32 v7, 31, v6
	v_sub_co_u32_e32 v14, vcc, v12, v6
	v_subb_co_u32_e32 v15, vcc, v13, v7, vcc
	v_cmp_lt_i64_e32 vcc, 15, v[2:3]
	s_and_saveexec_b64 s[36:37], vcc
	s_cbranch_execz .LBB2_73
; %bb.70:                               ;   in Loop: Header=BB2_53 Depth=1
	v_add_co_u32_e32 v39, vcc, v50, v8
	v_addc_co_u32_e32 v59, vcc, v51, v57, vcc
	v_accvgpr_read_b32 v6, a12
	v_accvgpr_read_b32 v7, a13
	v_add_co_u32_e32 v6, vcc, v6, v46
	v_addc_co_u32_e32 v7, vcc, v7, v37, vcc
	v_add_co_u32_e32 v6, vcc, v6, v42
	v_addc_co_u32_e32 v7, vcc, v7, v43, vcc
	;; [unrolled: 2-line block ×3, first 2 shown]
	v_mov_b32_e32 v6, v58
	v_add_co_u32_e32 v32, vcc, v48, v6
	v_accvgpr_write_b32 a30, v48
	v_accvgpr_write_b32 a34, v8
	;; [unrolled: 1-line block ×5, first 2 shown]
	v_addc_co_u32_e32 v33, vcc, v49, v28, vcc
	s_mov_b64 s[38:39], 0
.LBB2_71:                               ;   Parent Loop BB2_53 Depth=1
                                        ; =>  This Inner Loop Header: Depth=2
	v_add_co_u32_e32 v6, vcc, v39, v12
	v_addc_co_u32_e32 v7, vcc, v59, v13, vcc
	global_load_dwordx4 v[6:9], v[6:7], off glc slc
	v_add_co_u32_e32 v48, vcc, v32, v12
	v_addc_co_u32_e32 v49, vcc, v33, v13, vcc
	v_sub_co_u32_e32 v2, vcc, v2, v52
	v_subbrev_co_u32_e32 v3, vcc, 0, v3, vcc
	v_sub_co_u32_e32 v14, vcc, v14, v30
	v_subbrev_co_u32_e32 v15, vcc, 0, v15, vcc
	v_add_co_u32_e32 v12, vcc, v12, v29
	v_addc_co_u32_e32 v13, vcc, v13, v62, vcc
	v_cmp_gt_i64_e32 vcc, 16, v[2:3]
	s_or_b64 s[38:39], vcc, s[38:39]
	s_waitcnt vmcnt(0)
	global_store_dwordx4 v[48:49], v[6:9], off glc slc
	s_andn2_b64 exec, exec, s[38:39]
	s_cbranch_execnz .LBB2_71
; %bb.72:                               ;   in Loop: Header=BB2_53 Depth=1
	s_or_b64 exec, exec, s[38:39]
	v_accvgpr_read_b32 v51, a33
	v_accvgpr_read_b32 v50, a32
	v_accvgpr_read_b32 v49, a31
	v_accvgpr_read_b32 v48, a30
	v_accvgpr_read_b32 v8, a34
.LBB2_73:                               ;   in Loop: Header=BB2_53 Depth=1
	s_or_b64 exec, exec, s[36:37]
	s_mov_b64 s[36:37], 0
	v_cmp_ne_u64_e32 vcc, 0, v[60:61]
	v_pk_mov_b32 v[12:13], 0, 0
                                        ; implicit-def: $vgpr59
                                        ; implicit-def: $vgpr2
                                        ; implicit-def: $vgpr32_vgpr33
	s_and_saveexec_b64 s[38:39], vcc
	s_cbranch_execz .LBB2_75
; %bb.74:                               ;   in Loop: Header=BB2_53 Depth=1
	v_cmp_lt_i64_e32 vcc, 0, v[14:15]
	v_cndmask_b32_e32 v2, 0, v30, vcc
	v_sub_u32_e32 v2, v2, v14
	v_lshl_add_u32 v59, v2, 6, v38
	v_ashrrev_i32_e32 v2, 31, v59
	v_lshrrev_b32_e32 v2, 26, v2
	v_add_u32_e32 v2, v59, v2
	v_ashrrev_i32_e32 v2, 6, v2
	v_ashrrev_i32_e32 v3, 31, v2
	s_mov_b64 s[36:37], exec
	v_pk_mov_b32 v[12:13], v[40:41], v[40:41] op_sel:[0,1]
	v_pk_mov_b32 v[32:33], v[2:3], v[2:3] op_sel:[0,1]
.LBB2_75:                               ;   in Loop: Header=BB2_53 Depth=1
	s_or_b64 exec, exec, s[38:39]
	s_and_b64 s[36:37], s[36:37], exec
	v_mov_b32_e32 v40, v58
.LBB2_76:                               ;   in Loop: Header=BB2_53 Depth=1
	s_or_b64 exec, exec, s[34:35]
	s_and_saveexec_b64 s[34:35], s[36:37]
	s_cbranch_execz .LBB2_86
.LBB2_77:                               ;   in Loop: Header=BB2_53 Depth=1
	v_ashrrev_i32_e32 v3, 31, v61
	v_lshrrev_b32_e32 v3, 23, v3
	v_add_co_u32_e32 v6, vcc, v60, v3
	v_addc_co_u32_e32 v7, vcc, 0, v61, vcc
	v_ashrrev_i64 v[38:39], 9, v[6:7]
	v_sub_co_u32_e32 v14, vcc, v38, v32
	v_subb_co_u32_e32 v15, vcc, v39, v33, vcc
	v_ashrrev_i32_e32 v3, 31, v59
	v_cmp_lt_i64_e32 vcc, 0, v[14:15]
	v_lshrrev_b32_e32 v42, 26, v3
	s_and_saveexec_b64 s[36:37], vcc
	s_cbranch_execz .LBB2_81
; %bb.78:                               ;   in Loop: Header=BB2_53 Depth=1
	v_accvgpr_read_b32 v6, a12
	v_accvgpr_read_b32 v7, a13
	v_add_co_u32_e32 v6, vcc, v6, v46
	v_addc_co_u32_e32 v7, vcc, v7, v37, vcc
	v_add_co_u32_e32 v6, vcc, v6, v12
	v_addc_co_u32_e32 v7, vcc, v7, v13, vcc
	v_mov_b32_e32 v32, v8
	v_add_co_u32_e32 v8, vcc, v6, v50
	v_addc_co_u32_e32 v9, vcc, v7, v51, vcc
	v_accvgpr_write_b32 a36, v32
	v_add_co_u32_e32 v32, vcc, v8, v32
	v_add_u32_e32 v3, v59, v42
	v_addc_co_u32_e32 v33, vcc, v9, v57, vcc
	v_and_b32_e32 v3, 0xffffffc0, v3
	v_add_co_u32_e32 v6, vcc, v6, v48
	v_sub_u32_e32 v3, v59, v3
	v_addc_co_u32_e32 v7, vcc, v7, v49, vcc
	v_lshl_add_u32 v2, v2, 9, v3
	v_accvgpr_write_b32 a30, v48
	v_accvgpr_write_b32 a34, v40
	v_add_co_u32_e32 v40, vcc, v6, v40
	v_ashrrev_i32_e32 v3, 31, v2
	v_accvgpr_write_b32 a31, v49
	v_accvgpr_write_b32 a32, v50
	;; [unrolled: 1-line block ×3, first 2 shown]
	v_addc_co_u32_e32 v41, vcc, v7, v28, vcc
	s_mov_b64 s[38:39], 0
.LBB2_79:                               ;   Parent Loop BB2_53 Depth=1
                                        ; =>  This Inner Loop Header: Depth=2
	v_add_co_u32_e32 v6, vcc, v2, v32
	v_addc_co_u32_e32 v7, vcc, v3, v33, vcc
	flat_load_ubyte v8, v[6:7] glc slc
	flat_load_ubyte v9, v[6:7] offset:64 glc slc
	flat_load_ubyte v48, v[6:7] offset:128 glc slc
	;; [unrolled: 1-line block ×7, first 2 shown]
	v_add_co_u32_e32 v6, vcc, v2, v40
	v_addc_co_u32_e32 v7, vcc, v3, v41, vcc
	v_sub_co_u32_e32 v14, vcc, v14, v30
	v_subbrev_co_u32_e32 v15, vcc, 0, v15, vcc
	v_add_co_u32_e32 v32, vcc, v32, v31
	v_addc_co_u32_e32 v33, vcc, v33, v1, vcc
	v_add_co_u32_e32 v40, vcc, v40, v31
	v_addc_co_u32_e32 v41, vcc, v41, v1, vcc
	v_cmp_gt_i64_e32 vcc, 1, v[14:15]
	s_or_b64 s[38:39], vcc, s[38:39]
	s_waitcnt vmcnt(0) lgkmcnt(0)
	flat_store_byte v[6:7], v8 glc slc
	flat_store_byte v[6:7], v9 offset:64 glc slc
	flat_store_byte v[6:7], v48 offset:128 glc slc
	;; [unrolled: 1-line block ×7, first 2 shown]
	s_andn2_b64 exec, exec, s[38:39]
	s_cbranch_execnz .LBB2_79
; %bb.80:                               ;   in Loop: Header=BB2_53 Depth=1
	s_or_b64 exec, exec, s[38:39]
	v_accvgpr_read_b32 v51, a33
	v_accvgpr_read_b32 v50, a32
	;; [unrolled: 1-line block ×6, first 2 shown]
.LBB2_81:                               ;   in Loop: Header=BB2_53 Depth=1
	s_or_b64 exec, exec, s[36:37]
	v_lshlrev_b64 v[32:33], 9, v[38:39]
	v_cmp_ne_u64_e32 vcc, v[60:61], v[32:33]
	s_and_saveexec_b64 s[36:37], vcc
	s_cbranch_execz .LBB2_85
; %bb.82:                               ;   in Loop: Header=BB2_53 Depth=1
	v_add_u32_e32 v2, v59, v42
	v_and_b32_e32 v2, 0xffffffc0, v2
	v_sub_u32_e32 v2, v59, v2
	v_lshlrev_b32_e32 v3, 6, v14
	v_sub_u32_e32 v14, v2, v3
	v_ashrrev_i32_e32 v15, 31, v14
	v_add_co_u32_e32 v2, vcc, v32, v14
	v_addc_co_u32_e32 v3, vcc, v33, v15, vcc
	v_sub_co_u32_e32 v2, vcc, v60, v2
	v_subb_co_u32_e32 v3, vcc, v61, v3, vcc
	v_cmp_lt_i64_e32 vcc, 0, v[2:3]
	s_and_b64 exec, exec, vcc
	s_cbranch_execz .LBB2_85
; %bb.83:                               ;   in Loop: Header=BB2_53 Depth=1
	v_add_co_u32_e32 v38, vcc, v50, v8
	v_addc_co_u32_e32 v39, vcc, v51, v57, vcc
	v_accvgpr_read_b32 v6, a12
	v_accvgpr_read_b32 v7, a13
	v_add_co_u32_e32 v6, vcc, v6, v46
	v_addc_co_u32_e32 v7, vcc, v7, v37, vcc
	v_add_co_u32_e32 v6, vcc, v6, v12
	v_addc_co_u32_e32 v7, vcc, v7, v13, vcc
	v_add_co_u32_e32 v6, vcc, v6, v32
	v_addc_co_u32_e32 v7, vcc, v7, v33, vcc
	v_add_co_u32_e32 v8, vcc, v6, v14
	v_addc_co_u32_e32 v9, vcc, v7, v15, vcc
	v_add_co_u32_e32 v6, vcc, v48, v40
	v_addc_co_u32_e32 v7, vcc, v49, v28, vcc
	s_mov_b64 s[38:39], 0
.LBB2_84:                               ;   Parent Loop BB2_53 Depth=1
                                        ; =>  This Inner Loop Header: Depth=2
	v_add_co_u32_e32 v12, vcc, v38, v8
	v_addc_co_u32_e32 v13, vcc, v39, v9, vcc
	flat_load_ubyte v14, v[12:13] glc slc
	v_add_co_u32_e32 v12, vcc, v6, v8
	v_addc_co_u32_e32 v13, vcc, v7, v9, vcc
	v_sub_co_u32_e32 v2, vcc, v2, v54
	v_subbrev_co_u32_e32 v3, vcc, 0, v3, vcc
	v_add_co_u32_e32 v8, vcc, v8, v54
	v_addc_co_u32_e32 v9, vcc, v9, v21, vcc
	v_cmp_gt_i64_e32 vcc, 1, v[2:3]
	s_or_b64 s[38:39], vcc, s[38:39]
	s_waitcnt vmcnt(0) lgkmcnt(0)
	flat_store_byte v[12:13], v14 glc slc
	s_andn2_b64 exec, exec, s[38:39]
	s_cbranch_execnz .LBB2_84
.LBB2_85:                               ;   in Loop: Header=BB2_53 Depth=1
	s_or_b64 exec, exec, s[36:37]
.LBB2_86:                               ;   in Loop: Header=BB2_53 Depth=1
	s_or_b64 exec, exec, s[34:35]
	v_accvgpr_read_b32 v8, a16
	v_accvgpr_read_b32 v33, a25
	s_xor_b64 s[36:37], exec, -1
	v_accvgpr_read_b32 v9, a17
	v_accvgpr_read_b32 v61, a7
	;; [unrolled: 1-line block ×3, first 2 shown]
.LBB2_87:                               ;   in Loop: Header=BB2_53 Depth=1
	s_or_b64 exec, exec, s[22:23]
	s_and_saveexec_b64 s[34:35], s[36:37]
	s_cbranch_execz .LBB2_616
.LBB2_88:                               ;   in Loop: Header=BB2_53 Depth=1
	v_cmp_lt_i64_e32 vcc, 0, v[32:33]
	s_and_saveexec_b64 s[36:37], vcc
	s_cbranch_execz .LBB2_615
; %bb.89:                               ;   in Loop: Header=BB2_53 Depth=1
	s_add_i32 s73, s26, -1
	s_cmp_gt_u32 s26, 1
	s_mov_b64 s[38:39], 0
	s_cselect_b64 s[40:41], -1, 0
	v_pk_mov_b32 v[6:7], 0, 0
	s_branch .LBB2_92
.LBB2_90:                               ;   in Loop: Header=BB2_92 Depth=2
	s_or_b64 exec, exec, s[44:45]
.LBB2_91:                               ;   in Loop: Header=BB2_92 Depth=2
	s_or_b64 exec, exec, s[42:43]
	v_accvgpr_read_b32 v8, a16
	v_add_co_u32_e32 v6, vcc, v6, v8
	v_accvgpr_read_b32 v33, a25
	v_addc_co_u32_e32 v7, vcc, 0, v7, vcc
	v_accvgpr_read_b32 v32, a24
	v_cmp_ge_i64_e32 vcc, v[6:7], v[32:33]
	v_accvgpr_read_b32 v9, a17
	s_or_b64 s[38:39], vcc, s[38:39]
	s_andn2_b64 exec, exec, s[38:39]
	s_cbranch_execz .LBB2_614
.LBB2_92:                               ;   Parent Loop BB2_53 Depth=1
                                        ; =>  This Loop Header: Depth=2
                                        ;       Child Loop BB2_98 Depth 3
                                        ;         Child Loop BB2_106 Depth 4
                                        ;         Child Loop BB2_130 Depth 4
	;; [unrolled: 1-line block ×8, first 2 shown]
                                        ;       Child Loop BB2_218 Depth 3
                                        ;         Child Loop BB2_224 Depth 4
                                        ;         Child Loop BB2_248 Depth 4
                                        ;       Child Loop BB2_268 Depth 3
                                        ;         Child Loop BB2_272 Depth 4
                                        ;           Child Loop BB2_280 Depth 5
                                        ;           Child Loop BB2_308 Depth 5
	;; [unrolled: 1-line block ×8, first 2 shown]
                                        ;         Child Loop BB2_396 Depth 4
                                        ;           Child Loop BB2_402 Depth 5
                                        ;           Child Loop BB2_430 Depth 5
                                        ;       Child Loop BB2_450 Depth 3
                                        ;         Child Loop BB2_460 Depth 4
                                        ;         Child Loop BB2_482 Depth 4
	;; [unrolled: 1-line block ×8, first 2 shown]
                                        ;       Child Loop BB2_569 Depth 3
                                        ;         Child Loop BB2_575 Depth 4
                                        ;         Child Loop BB2_599 Depth 4
	v_sub_co_u32_e32 v2, vcc, v32, v6
	v_subb_co_u32_e32 v3, vcc, v33, v7, vcc
	v_cmp_lt_i64_e32 vcc, v[8:9], v[2:3]
	v_cndmask_b32_e32 v2, v2, v8, vcc
	v_max_i32_e32 v38, 0, v2
	v_add_u32_e32 v3, 31, v38
	v_lshrrev_b32_e32 v3, 1, v3
	v_and_b32_e32 v3, 0x3ffffff0, v3
	v_max_i32_e32 v39, s68, v3
	v_cmp_lt_i32_e32 vcc, 0, v2
	s_and_b64 s[42:43], s[30:31], vcc
	v_mov_b32_e32 v2, 0
	v_mov_b32_e32 v8, v39
	;; [unrolled: 1-line block ×3, first 2 shown]
	s_and_saveexec_b64 s[44:45], s[42:43]
	s_cbranch_execnz .LBB2_95
; %bb.93:                               ;   in Loop: Header=BB2_92 Depth=2
	s_or_b64 exec, exec, s[44:45]
	v_cmp_gt_i32_e32 vcc, 2, v2
	s_and_saveexec_b64 s[44:45], vcc
	s_cbranch_execnz .LBB2_215
.LBB2_94:                               ;   in Loop: Header=BB2_92 Depth=2
	s_or_b64 exec, exec, s[44:45]
	s_andn2_b64 vcc, exec, s[40:41]
	s_cbranch_vccz .LBB2_265
	s_branch .LBB2_447
.LBB2_95:                               ;   in Loop: Header=BB2_92 Depth=2
	s_mov_b32 s74, 1
	s_mov_b64 s[48:49], -1
	s_mov_b64 s[46:47], 0
	v_mov_b32_e32 v32, 0
	v_mov_b32_e32 v8, v39
	s_branch .LBB2_98
.LBB2_96:                               ;   in Loop: Header=BB2_98 Depth=3
	s_or_b64 exec, exec, vcc
	v_add_co_u32_e32 v16, vcc, 2, v16
	v_addc_co_u32_e32 v17, vcc, 0, v17, vcc
	flat_store_dwordx2 v[18:19], v[16:17]
.LBB2_97:                               ;   in Loop: Header=BB2_98 Depth=3
	s_or_b64 exec, exec, s[22:23]
	v_add_u32_e32 v32, v8, v32
	v_cmp_ge_i32_e32 vcc, v32, v38
	s_xor_b64 s[22:23], s[48:49], -1
	s_or_b64 s[22:23], s[22:23], vcc
	s_and_b64 s[22:23], exec, s[22:23]
	s_or_b64 s[46:47], s[22:23], s[46:47]
	s_mov_b64 s[48:49], 0
	v_mov_b32_e32 v2, s74
	s_mov_b32 s74, 2
	s_andn2_b64 exec, exec, s[46:47]
	s_cbranch_execz .LBB2_214
.LBB2_98:                               ;   Parent Loop BB2_53 Depth=1
                                        ;     Parent Loop BB2_92 Depth=2
                                        ; =>    This Loop Header: Depth=3
                                        ;         Child Loop BB2_106 Depth 4
                                        ;         Child Loop BB2_130 Depth 4
	;; [unrolled: 1-line block ×8, first 2 shown]
	s_and_saveexec_b64 s[22:23], s[4:5]
	s_cbranch_execz .LBB2_100
; %bb.99:                               ;   in Loop: Header=BB2_98 Depth=3
	s_trap 2
	ds_read_b64 v[2:3], v0
	v_accvgpr_read_b32 v9, a26
	v_mov_b32_e32 v37, v36
	ds_write_b64 v0, v[36:37]
	s_waitcnt lgkmcnt(0)
	v_add_co_u32_e32 v2, vcc, v2, v9
	v_accvgpr_read_b32 v9, a27
	v_addc_co_u32_e32 v3, vcc, v3, v9, vcc
	v_add_co_u32_e32 v2, vcc, v2, v6
	v_addc_co_u32_e32 v3, vcc, v3, v7, vcc
	v_ashrrev_i32_e32 v9, 31, v32
	v_add_co_u32_e32 v2, vcc, v2, v32
	v_addc_co_u32_e32 v3, vcc, v3, v9, vcc
	ds_write_b64 v0, v[2:3]
.LBB2_100:                              ;   in Loop: Header=BB2_98 Depth=3
	s_or_b64 exec, exec, s[22:23]
	v_and_b32_e32 v2, 8, v55
	v_cmp_ne_u32_e32 vcc, 0, v2
	s_mov_b64 s[50:51], -1
	s_and_saveexec_b64 s[22:23], vcc
	s_cbranch_execz .LBB2_112
; %bb.101:                              ;   in Loop: Header=BB2_98 Depth=3
	v_add_co_u32_e32 v2, vcc, 8, v26
	v_addc_co_u32_e32 v3, vcc, 0, v27, vcc
	v_add_co_u32_e32 v12, vcc, 2, v16
	v_addc_co_u32_e32 v13, vcc, 0, v17, vcc
	v_cmp_lt_u64_e32 vcc, v[2:3], v[12:13]
	v_mov_b32_e32 v2, 1
	s_and_saveexec_b64 s[50:51], vcc
	s_cbranch_execz .LBB2_111
; %bb.102:                              ;   in Loop: Header=BB2_98 Depth=3
	s_mov_b64 s[52:53], 0
	v_mov_b32_e32 v2, 0
                                        ; implicit-def: $sgpr54_sgpr55
	s_branch .LBB2_106
.LBB2_103:                              ;   in Loop: Header=BB2_106 Depth=4
	s_or_b64 exec, exec, s[62:63]
	v_mov_b32_e32 v3, 0
	s_orn2_b64 s[60:61], s[60:61], exec
.LBB2_104:                              ;   in Loop: Header=BB2_106 Depth=4
	s_or_b64 exec, exec, s[58:59]
	s_andn2_b64 vcc, s[54:55], exec
	s_and_b64 s[54:55], s[60:61], exec
	s_or_b64 s[54:55], vcc, s[54:55]
	v_mov_b32_e32 v2, v3
.LBB2_105:                              ;   in Loop: Header=BB2_106 Depth=4
	s_or_b64 exec, exec, s[56:57]
	s_waitcnt vmcnt(0) lgkmcnt(0)
	v_add_co_u32_e32 v14, vcc, 8, v26
	v_addc_co_u32_e32 v15, vcc, 0, v27, vcc
	v_cmp_ge_u64_e32 vcc, v[14:15], v[12:13]
	s_xor_b64 s[56:57], s[54:55], -1
	s_or_b64 vcc, s[56:57], vcc
	s_and_b64 vcc, exec, vcc
	s_or_b64 s[52:53], vcc, s[52:53]
	s_andn2_b64 exec, exec, s[52:53]
	s_cbranch_execz .LBB2_110
.LBB2_106:                              ;   Parent Loop BB2_53 Depth=1
                                        ;     Parent Loop BB2_92 Depth=2
                                        ;       Parent Loop BB2_98 Depth=3
                                        ; =>      This Inner Loop Header: Depth=4
	s_sleep 1
	flat_load_dwordx2 v[26:27], v[18:19] glc
	v_and_b32_e32 v3, 64, v55
	v_cmp_eq_u32_e32 vcc, 0, v3
	s_andn2_b64 s[54:55], s[54:55], exec
	s_and_saveexec_b64 s[56:57], vcc
	s_cbranch_execz .LBB2_105
; %bb.107:                              ;   in Loop: Header=BB2_106 Depth=4
	v_add_u32_e32 v3, 1, v2
	v_cmp_lt_i32_e32 vcc, s71, v2
	s_mov_b64 s[60:61], -1
	s_and_saveexec_b64 s[58:59], vcc
	s_cbranch_execz .LBB2_104
; %bb.108:                              ;   in Loop: Header=BB2_106 Depth=4
	s_trap 2
	ds_read_b64 v[2:3], v0
	s_waitcnt vmcnt(0) lgkmcnt(0)
	flat_load_dword v2, v[2:3] glc
	s_waitcnt vmcnt(0) lgkmcnt(0)
	buffer_invl2
	buffer_wbinvl1_vol
	v_cmp_ne_u32_e32 vcc, 0, v2
	s_and_saveexec_b64 s[62:63], vcc
	s_cbranch_execz .LBB2_103
; %bb.109:                              ;   in Loop: Header=BB2_106 Depth=4
	v_or_b32_e32 v55, 64, v55
	s_xor_b64 s[60:61], exec, -1
	ds_write_b32 v0, v2
	s_trap 2
	s_branch .LBB2_103
.LBB2_110:                              ;   in Loop: Header=BB2_98 Depth=3
	s_or_b64 exec, exec, s[52:53]
	v_and_b32_e32 v2, 8, v55
.LBB2_111:                              ;   in Loop: Header=BB2_98 Depth=3
	s_or_b64 exec, exec, s[50:51]
	v_cmp_eq_u32_e32 vcc, 0, v2
	s_orn2_b64 s[50:51], vcc, exec
	;;#ASMSTART
	s_wakeup
	;;#ASMEND
.LBB2_112:                              ;   in Loop: Header=BB2_98 Depth=3
	s_or_b64 exec, exec, s[22:23]
	v_sub_u32_e32 v2, v38, v32
	s_xor_b64 s[22:23], s[50:51], -1
	v_min_i32_e32 v8, v8, v2
	s_and_saveexec_b64 s[50:51], s[22:23]
	s_cbranch_execz .LBB2_122
; %bb.113:                              ;   in Loop: Header=BB2_98 Depth=3
	v_and_b32_e32 v2, 0x100, v55
	v_cmp_ne_u32_e32 vcc, 0, v2
	v_and_b32_e32 v14, 7, v16
	s_mov_b64 s[22:23], -1
                                        ; implicit-def: $vgpr2_vgpr3
	s_and_saveexec_b64 s[52:53], vcc
	s_cbranch_execz .LBB2_117
; %bb.114:                              ;   in Loop: Header=BB2_98 Depth=3
	v_mad_u64_u32 v[12:13], s[22:23], v14, 24, v[4:5]
	flat_load_dword v2, v[12:13]
	v_ashrrev_i32_e32 v9, 31, v8
	flat_store_dwordx2 v[12:13], v[8:9] offset:8
	s_waitcnt vmcnt(0) lgkmcnt(0)
	v_cmp_ne_u32_e32 vcc, 1, v2
	v_cmp_eq_u32_e64 s[22:23], 1, v2
                                        ; implicit-def: $vgpr2_vgpr3
	s_and_saveexec_b64 s[54:55], s[22:23]
	s_cbranch_execz .LBB2_116
; %bb.115:                              ;   in Loop: Header=BB2_98 Depth=3
	flat_load_dword v2, v[12:13] offset:4 glc
	s_waitcnt vmcnt(0) lgkmcnt(0)
	v_ashrrev_i32_e32 v3, 31, v2
.LBB2_116:                              ;   in Loop: Header=BB2_98 Depth=3
	s_or_b64 exec, exec, s[54:55]
	s_orn2_b64 s[22:23], vcc, exec
.LBB2_117:                              ;   in Loop: Header=BB2_98 Depth=3
	s_or_b64 exec, exec, s[52:53]
	s_and_saveexec_b64 vcc, s[22:23]
; %bb.118:                              ;   in Loop: Header=BB2_98 Depth=3
	v_mad_i64_i32 v[2:3], s[22:23], v14, v20, 0
; %bb.119:                              ;   in Loop: Header=BB2_98 Depth=3
	s_or_b64 exec, exec, vcc
	v_add_co_u32_e32 v2, vcc, v22, v2
	v_addc_co_u32_e32 v3, vcc, v23, v3, vcc
	ds_write_b64 v0, v[2:3] offset:784
	v_and_b32_e32 v2, 0x2000, v55
	v_cmp_ne_u32_e32 vcc, 0, v2
	s_and_saveexec_b64 s[22:23], vcc
	s_cbranch_execz .LBB2_121
; %bb.120:                              ;   in Loop: Header=BB2_98 Depth=3
	ds_read_b64 v[2:3], v0 offset:584
	s_waitcnt lgkmcnt(0)
	v_add_co_u32_e32 v2, vcc, 1, v2
	v_addc_co_u32_e32 v3, vcc, 0, v3, vcc
	ds_write_b64 v0, v[2:3] offset:584
.LBB2_121:                              ;   in Loop: Header=BB2_98 Depth=3
	s_or_b64 exec, exec, s[22:23]
	v_add_co_u32_e32 v16, vcc, 2, v16
	v_addc_co_u32_e32 v17, vcc, 0, v17, vcc
.LBB2_122:                              ;   in Loop: Header=BB2_98 Depth=3
	s_or_b64 exec, exec, s[50:51]
	s_and_saveexec_b64 s[22:23], s[6:7]
	s_cbranch_execz .LBB2_141
; %bb.123:                              ;   in Loop: Header=BB2_98 Depth=3
	s_and_saveexec_b64 vcc, s[28:29]
	s_xor_b64 s[50:51], exec, vcc
	s_cbranch_execz .LBB2_138
; %bb.124:                              ;   in Loop: Header=BB2_98 Depth=3
	s_and_saveexec_b64 s[52:53], s[12:13]
	s_cbranch_execz .LBB2_137
; %bb.125:                              ;   in Loop: Header=BB2_98 Depth=3
	s_mov_b64 s[56:57], exec
	v_mbcnt_lo_u32_b32 v2, s56, 0
	v_mbcnt_hi_u32_b32 v2, s57, v2
	v_cmp_eq_u32_e32 vcc, 0, v2
	s_waitcnt vmcnt(0) lgkmcnt(0)
	buffer_wbinvl1_vol
	s_and_saveexec_b64 s[54:55], vcc
	s_cbranch_execz .LBB2_127
; %bb.126:                              ;   in Loop: Header=BB2_98 Depth=3
	s_bcnt1_i32_b64 vcc_lo, s[56:57]
	v_mov_b32_e32 v2, vcc_lo
	v_mov_b32_e32 v3, v36
	ds_add_u64 v0, v[2:3]
	s_trap 2
.LBB2_127:                              ;   in Loop: Header=BB2_98 Depth=3
	s_or_b64 exec, exec, s[54:55]
	s_trap 2
	ds_read_b64 v[2:3], v0
	v_add_co_u32_e32 v10, vcc, v10, v30
	v_addc_co_u32_e32 v11, vcc, 0, v11, vcc
	s_waitcnt lgkmcnt(0)
	v_cmp_lt_u64_e32 vcc, v[2:3], v[10:11]
	s_and_saveexec_b64 s[54:55], vcc
	s_cbranch_execz .LBB2_136
; %bb.128:                              ;   in Loop: Header=BB2_98 Depth=3
	s_mov_b32 s75, 0
	s_mov_b64 s[56:57], 0
                                        ; implicit-def: $sgpr58_sgpr59
                                        ; implicit-def: $sgpr60_sgpr61
	s_branch .LBB2_130
.LBB2_129:                              ;   in Loop: Header=BB2_130 Depth=4
	s_or_b64 exec, exec, s[64:65]
	s_and_b64 vcc, exec, vcc
	s_or_b64 s[56:57], vcc, s[56:57]
	s_andn2_b64 vcc, s[58:59], exec
	s_and_b64 s[58:59], s[60:61], exec
	s_or_b64 s[58:59], vcc, s[58:59]
	s_andn2_b64 exec, exec, s[56:57]
	s_cbranch_execz .LBB2_134
.LBB2_130:                              ;   Parent Loop BB2_53 Depth=1
                                        ;     Parent Loop BB2_92 Depth=2
                                        ;       Parent Loop BB2_98 Depth=3
                                        ; =>      This Inner Loop Header: Depth=4
	s_add_i32 s75, s75, 1
	s_cmpk_lg_i32 s75, 0x2710
	s_cselect_b64 s[62:63], -1, 0
	s_and_b64 vcc, exec, s[62:63]
                                        ; implicit-def: $sgpr64_sgpr65
	s_cbranch_vccnz .LBB2_132
; %bb.131:                              ;   in Loop: Header=BB2_130 Depth=4
	s_trap 2
	ds_read_b64 v[2:3], v0
	s_andn2_b64 s[62:63], s[62:63], exec
	s_mov_b32 s75, 0
	s_mov_b64 s[64:65], -1
	s_waitcnt lgkmcnt(0)
	flat_load_dword v2, v[2:3] glc
	s_waitcnt vmcnt(0) lgkmcnt(0)
	buffer_invl2
	buffer_wbinvl1_vol
	v_cmp_eq_u32_e32 vcc, 0, v2
	s_and_b64 vcc, vcc, exec
	s_or_b64 s[62:63], s[62:63], vcc
.LBB2_132:                              ;   in Loop: Header=BB2_130 Depth=4
	s_andn2_b64 s[60:61], s[60:61], exec
	s_and_b64 s[64:65], s[64:65], exec
	s_mov_b64 vcc, -1
	s_or_b64 s[60:61], s[60:61], s[64:65]
	s_and_saveexec_b64 s[64:65], s[62:63]
	s_cbranch_execz .LBB2_129
; %bb.133:                              ;   in Loop: Header=BB2_130 Depth=4
	s_sleep 1
	s_trap 2
	ds_read_b64 v[2:3], v0
	s_andn2_b64 s[60:61], s[60:61], exec
	s_waitcnt lgkmcnt(0)
	v_cmp_ge_u64_e32 vcc, v[2:3], v[10:11]
	s_orn2_b64 vcc, vcc, exec
	s_branch .LBB2_129
.LBB2_134:                              ;   in Loop: Header=BB2_98 Depth=3
	s_or_b64 exec, exec, s[56:57]
	s_and_saveexec_b64 vcc, s[58:59]
	s_xor_b64 vcc, exec, vcc
	s_cbranch_execz .LBB2_136
; %bb.135:                              ;   in Loop: Header=BB2_98 Depth=3
	ds_write_b32 v0, v56
	s_trap 2
.LBB2_136:                              ;   in Loop: Header=BB2_98 Depth=3
	s_or_b64 exec, exec, s[54:55]
	;;#ASMSTART
	s_wakeup
	;;#ASMEND
.LBB2_137:                              ;   in Loop: Header=BB2_98 Depth=3
	s_or_b64 exec, exec, s[52:53]
.LBB2_138:                              ;   in Loop: Header=BB2_98 Depth=3
	s_andn2_saveexec_b64 vcc, s[50:51]
	s_cbranch_execz .LBB2_140
; %bb.139:                              ;   in Loop: Header=BB2_98 Depth=3
	s_waitcnt vmcnt(0) lgkmcnt(0)
	buffer_wbinvl1_vol
	s_barrier
.LBB2_140:                              ;   in Loop: Header=BB2_98 Depth=3
	s_or_b64 exec, exec, vcc
.LBB2_141:                              ;   in Loop: Header=BB2_98 Depth=3
	s_or_b64 exec, exec, s[22:23]
	s_trap 2
	ds_read_b32 v2, v0
	v_and_b32_e32 v3, 0x4000, v55
	v_cmp_ne_u32_e32 vcc, 0, v3
	s_xor_b64 s[22:23], s[14:15], -1
	s_and_b64 vcc, s[22:23], vcc
	s_and_saveexec_b64 s[22:23], vcc
	s_cbranch_execz .LBB2_160
; %bb.142:                              ;   in Loop: Header=BB2_98 Depth=3
	s_and_saveexec_b64 vcc, s[28:29]
	s_xor_b64 s[50:51], exec, vcc
	s_cbranch_execz .LBB2_157
; %bb.143:                              ;   in Loop: Header=BB2_98 Depth=3
	s_and_saveexec_b64 s[52:53], s[12:13]
	s_cbranch_execz .LBB2_156
; %bb.144:                              ;   in Loop: Header=BB2_98 Depth=3
	s_mov_b64 s[56:57], exec
	v_mbcnt_lo_u32_b32 v3, s56, 0
	v_mbcnt_hi_u32_b32 v3, s57, v3
	v_cmp_eq_u32_e32 vcc, 0, v3
	s_waitcnt vmcnt(0) lgkmcnt(0)
	buffer_wbinvl1_vol
	s_and_saveexec_b64 s[54:55], vcc
	s_cbranch_execz .LBB2_146
; %bb.145:                              ;   in Loop: Header=BB2_98 Depth=3
	s_bcnt1_i32_b64 vcc_lo, s[56:57]
	v_mov_b32_e32 v12, vcc_lo
	v_mov_b32_e32 v13, v36
	ds_add_u64 v0, v[12:13]
	s_trap 2
.LBB2_146:                              ;   in Loop: Header=BB2_98 Depth=3
	s_or_b64 exec, exec, s[54:55]
	s_trap 2
	ds_read_b64 v[12:13], v0
	v_add_co_u32_e32 v10, vcc, v10, v30
	v_addc_co_u32_e32 v11, vcc, 0, v11, vcc
	s_waitcnt lgkmcnt(0)
	v_cmp_lt_u64_e32 vcc, v[12:13], v[10:11]
	s_and_saveexec_b64 s[54:55], vcc
	s_cbranch_execz .LBB2_155
; %bb.147:                              ;   in Loop: Header=BB2_98 Depth=3
	s_mov_b32 s75, 0
	s_mov_b64 s[56:57], 0
                                        ; implicit-def: $sgpr58_sgpr59
                                        ; implicit-def: $sgpr60_sgpr61
	s_branch .LBB2_149
.LBB2_148:                              ;   in Loop: Header=BB2_149 Depth=4
	s_or_b64 exec, exec, s[64:65]
	s_and_b64 vcc, exec, vcc
	s_or_b64 s[56:57], vcc, s[56:57]
	s_andn2_b64 vcc, s[58:59], exec
	s_and_b64 s[58:59], s[60:61], exec
	s_or_b64 s[58:59], vcc, s[58:59]
	s_andn2_b64 exec, exec, s[56:57]
	s_cbranch_execz .LBB2_153
.LBB2_149:                              ;   Parent Loop BB2_53 Depth=1
                                        ;     Parent Loop BB2_92 Depth=2
                                        ;       Parent Loop BB2_98 Depth=3
                                        ; =>      This Inner Loop Header: Depth=4
	s_add_i32 s75, s75, 1
	s_cmpk_lg_i32 s75, 0x2710
	s_cselect_b64 s[62:63], -1, 0
	s_and_b64 vcc, exec, s[62:63]
                                        ; implicit-def: $sgpr64_sgpr65
	s_cbranch_vccnz .LBB2_151
; %bb.150:                              ;   in Loop: Header=BB2_149 Depth=4
	s_trap 2
	ds_read_b64 v[12:13], v0
	s_andn2_b64 s[62:63], s[62:63], exec
	s_mov_b32 s75, 0
	s_mov_b64 s[64:65], -1
	s_waitcnt lgkmcnt(0)
	flat_load_dword v3, v[12:13] glc
	s_waitcnt vmcnt(0) lgkmcnt(0)
	buffer_invl2
	buffer_wbinvl1_vol
	v_cmp_eq_u32_e32 vcc, 0, v3
	s_and_b64 vcc, vcc, exec
	s_or_b64 s[62:63], s[62:63], vcc
.LBB2_151:                              ;   in Loop: Header=BB2_149 Depth=4
	s_andn2_b64 s[60:61], s[60:61], exec
	s_and_b64 s[64:65], s[64:65], exec
	s_mov_b64 vcc, -1
	s_or_b64 s[60:61], s[60:61], s[64:65]
	s_and_saveexec_b64 s[64:65], s[62:63]
	s_cbranch_execz .LBB2_148
; %bb.152:                              ;   in Loop: Header=BB2_149 Depth=4
	s_sleep 1
	s_trap 2
	ds_read_b64 v[12:13], v0
	s_andn2_b64 s[60:61], s[60:61], exec
	s_waitcnt lgkmcnt(0)
	v_cmp_ge_u64_e32 vcc, v[12:13], v[10:11]
	s_orn2_b64 vcc, vcc, exec
	s_branch .LBB2_148
.LBB2_153:                              ;   in Loop: Header=BB2_98 Depth=3
	s_or_b64 exec, exec, s[56:57]
	s_and_saveexec_b64 vcc, s[58:59]
	s_xor_b64 vcc, exec, vcc
	s_cbranch_execz .LBB2_155
; %bb.154:                              ;   in Loop: Header=BB2_98 Depth=3
	ds_write_b32 v0, v56
	s_trap 2
.LBB2_155:                              ;   in Loop: Header=BB2_98 Depth=3
	s_or_b64 exec, exec, s[54:55]
	;;#ASMSTART
	s_wakeup
	;;#ASMEND
.LBB2_156:                              ;   in Loop: Header=BB2_98 Depth=3
	s_or_b64 exec, exec, s[52:53]
.LBB2_157:                              ;   in Loop: Header=BB2_98 Depth=3
	s_andn2_saveexec_b64 vcc, s[50:51]
	s_cbranch_execz .LBB2_159
; %bb.158:                              ;   in Loop: Header=BB2_98 Depth=3
	s_waitcnt vmcnt(0) lgkmcnt(0)
	buffer_wbinvl1_vol
	s_barrier
.LBB2_159:                              ;   in Loop: Header=BB2_98 Depth=3
	s_or_b64 exec, exec, vcc
.LBB2_160:                              ;   in Loop: Header=BB2_98 Depth=3
	s_or_b64 exec, exec, s[22:23]
	s_trap 2
	ds_read_b64 v[12:13], v0
	v_mov_b32_e32 v33, 0
	s_waitcnt lgkmcnt(0)
	v_readfirstlane_b32 s22, v12
	v_readfirstlane_b32 s23, v13
	s_cmp_eq_u64 s[22:23], 0
	s_cselect_b64 s[22:23], -1, 0
	s_or_b64 s[22:23], s[22:23], s[22:23]
	s_and_b64 vcc, exec, s[22:23]
	s_cbranch_vccnz .LBB2_190
; %bb.161:                              ;   in Loop: Header=BB2_98 Depth=3
	s_mov_b64 s[22:23], -1
	s_and_saveexec_b64 s[50:51], s[10:11]
	s_cbranch_execz .LBB2_163
; %bb.162:                              ;   in Loop: Header=BB2_98 Depth=3
	ds_read_b32 v3, v0 offset:720
	s_waitcnt lgkmcnt(0)
	v_and_b32_e32 v3, 15, v3
	v_cmp_eq_u32_e32 vcc, 0, v3
	s_orn2_b64 s[22:23], vcc, exec
.LBB2_163:                              ;   in Loop: Header=BB2_98 Depth=3
	s_or_b64 exec, exec, s[50:51]
	s_and_saveexec_b64 s[50:51], s[16:17]
	s_cbranch_execz .LBB2_165
; %bb.164:                              ;   in Loop: Header=BB2_98 Depth=3
	ds_read_b32 v3, v0 offset:784
	s_waitcnt lgkmcnt(0)
	v_and_b32_e32 v3, 15, v3
	v_cmp_eq_u32_e32 vcc, 0, v3
	s_and_b64 vcc, s[22:23], vcc
	s_andn2_b64 s[22:23], s[22:23], exec
	s_and_b64 vcc, vcc, exec
	s_or_b64 s[22:23], s[22:23], vcc
.LBB2_165:                              ;   in Loop: Header=BB2_98 Depth=3
	s_or_b64 exec, exec, s[50:51]
	v_cmp_eq_u32_e32 vcc, 0, v2
	s_xor_b64 s[22:23], s[22:23], -1
	v_cndmask_b32_e32 v33, 0, v8, vcc
	v_cndmask_b32_e64 v2, 0, 1, s[22:23]
	v_mov_b32_e32 v13, 0
	s_mov_b64 s[52:53], -1
	;;#ASMSTART
	;;#ASMEND
	v_cmp_ne_u32_e32 vcc, 0, v2
	v_mov_b32_e32 v37, v33
	v_mov_b32_e32 v40, v0
	;; [unrolled: 1-line block ×3, first 2 shown]
	s_cbranch_vccz .LBB2_167
; %bb.166:                              ;   in Loop: Header=BB2_98 Depth=3
	s_and_saveexec_b64 s[22:23], s[52:53]
	s_cbranch_execnz .LBB2_180
	s_branch .LBB2_189
.LBB2_167:                              ;   in Loop: Header=BB2_98 Depth=3
	v_ashrrev_i32_e32 v2, 31, v33
	v_lshrrev_b32_e32 v2, 22, v2
	v_add_u32_e32 v2, v33, v2
	v_and_b32_e32 v14, 0xfffffc00, v2
	v_sub_u32_e32 v42, v33, v14
	v_ashrrev_i32_e32 v3, 10, v2
	v_cmp_lt_i32_e32 vcc, 15, v42
	v_sub_u32_e32 v9, v33, v44
	v_addc_co_u32_e64 v41, s[22:23], v3, v47, vcc
	v_cmp_lt_i32_e64 s[22:23], 15, v9
	s_and_saveexec_b64 s[50:51], s[22:23]
	s_cbranch_execz .LBB2_171
; %bb.168:                              ;   in Loop: Header=BB2_98 Depth=3
	s_trap 2
	ds_read_b64 v[2:3], v0
	s_mov_b64 s[52:53], 0
	v_pk_mov_b32 v[12:13], v[44:45], v[44:45] op_sel:[0,1]
.LBB2_169:                              ;   Parent Loop BB2_53 Depth=1
                                        ;     Parent Loop BB2_92 Depth=2
                                        ;       Parent Loop BB2_98 Depth=3
                                        ; =>      This Inner Loop Header: Depth=4
	s_waitcnt lgkmcnt(0)
	v_add_co_u32_e64 v48, s[22:23], v2, v12
	v_addc_co_u32_e64 v49, s[22:23], v3, v13, s[22:23]
	global_load_dwordx4 v[58:61], v[48:49], off glc slc
	v_add_co_u32_e64 v12, s[22:23], v12, v29
	v_sub_u32_e32 v9, v9, v52
	v_addc_co_u32_e64 v13, s[22:23], v13, v62, s[22:23]
	v_cmp_gt_i32_e64 s[22:23], 16, v9
	v_sub_u32_e32 v41, v41, v30
	s_or_b64 s[52:53], s[22:23], s[52:53]
	s_waitcnt vmcnt(0)
	global_store_dwordx4 v[48:49], v[58:61], off glc slc
	s_andn2_b64 exec, exec, s[52:53]
	s_cbranch_execnz .LBB2_169
; %bb.170:                              ;   in Loop: Header=BB2_98 Depth=3
	s_or_b64 exec, exec, s[52:53]
	v_accvgpr_read_b32 v61, a7
.LBB2_171:                              ;   in Loop: Header=BB2_98 Depth=3
	s_or_b64 exec, exec, s[50:51]
	v_and_b32_e32 v2, 15, v33
	v_cndmask_b32_e32 v15, v42, v2, vcc
	v_cmp_ne_u32_e64 s[22:23], 0, v15
	s_mov_b64 s[52:53], 0
	v_mov_b32_e32 v13, 0
                                        ; implicit-def: $vgpr37
                                        ; implicit-def: $vgpr40
                                        ; implicit-def: $vgpr9
	s_and_saveexec_b64 s[50:51], s[22:23]
	s_cbranch_execz .LBB2_179
; %bb.172:                              ;   in Loop: Header=BB2_98 Depth=3
	v_sub_u32_e32 v2, v42, v2
	v_cndmask_b32_e32 v2, 0, v2, vcc
	v_cmp_lt_i32_e32 vcc, 0, v41
	v_add_u32_e32 v14, v2, v14
	v_cndmask_b32_e32 v2, 0, v30, vcc
	v_sub_u32_e32 v2, v2, v41
	v_lshl_add_u32 v2, v2, 6, v61
	v_ashrrev_i32_e32 v3, 31, v2
	v_lshrrev_b32_e32 v3, 26, v3
	v_add_u32_e32 v3, v2, v3
	v_ashrrev_i32_e32 v12, 6, v3
	v_and_b32_e32 v3, 0xffffffc0, v3
	v_sub_u32_e32 v41, v2, v3
	v_lshlrev_b32_e32 v2, 4, v41
	v_lshl_add_u32 v9, v12, 10, v2
	v_ashrrev_i32_e32 v2, 31, v15
	v_lshrrev_b32_e32 v2, 22, v2
	v_add_u32_e32 v2, v15, v2
	v_and_b32_e32 v42, 0xfffffc00, v2
	v_sub_u32_e32 v46, v15, v42
	v_ashrrev_i32_e32 v3, 10, v2
	v_cmp_lt_i32_e32 vcc, 15, v46
	v_sub_u32_e32 v13, v15, v9
	v_addc_co_u32_e64 v2, s[22:23], 0, v3, vcc
	v_sub_u32_e32 v43, v2, v12
	v_cmp_lt_i32_e64 s[22:23], 15, v13
	s_and_saveexec_b64 s[52:53], s[22:23]
	s_cbranch_execz .LBB2_176
; %bb.173:                              ;   in Loop: Header=BB2_98 Depth=3
	s_trap 2
	ds_read_b64 v[2:3], v0
	v_add_u32_e32 v12, v9, v14
	v_ashrrev_i32_e32 v9, 31, v12
	s_mov_b64 s[54:55], 0
.LBB2_174:                              ;   Parent Loop BB2_53 Depth=1
                                        ;     Parent Loop BB2_92 Depth=2
                                        ;       Parent Loop BB2_98 Depth=3
                                        ; =>      This Inner Loop Header: Depth=4
	s_waitcnt lgkmcnt(0)
	v_add_co_u32_e64 v48, s[22:23], v2, v12
	v_addc_co_u32_e64 v49, s[22:23], v3, v9, s[22:23]
	global_load_dwordx4 v[58:61], v[48:49], off glc slc
	v_add_co_u32_e64 v12, s[22:23], v12, v29
	v_sub_u32_e32 v13, v13, v52
	v_addc_co_u32_e64 v9, s[22:23], v9, v62, s[22:23]
	v_cmp_gt_i32_e64 s[22:23], 16, v13
	v_sub_u32_e32 v43, v43, v30
	s_or_b64 s[54:55], s[22:23], s[54:55]
	s_waitcnt vmcnt(0)
	global_store_dwordx4 v[48:49], v[58:61], off glc slc
	s_andn2_b64 exec, exec, s[54:55]
	s_cbranch_execnz .LBB2_174
; %bb.175:                              ;   in Loop: Header=BB2_98 Depth=3
	s_or_b64 exec, exec, s[54:55]
	v_accvgpr_read_b32 v61, a7
.LBB2_176:                              ;   in Loop: Header=BB2_98 Depth=3
	s_or_b64 exec, exec, s[52:53]
	v_and_b32_e32 v2, 15, v15
	v_cndmask_b32_e32 v37, v46, v2, vcc
	v_cmp_ne_u32_e64 s[22:23], 0, v37
	s_mov_b64 s[52:53], 0
	v_mov_b32_e32 v13, 0
                                        ; implicit-def: $vgpr40
                                        ; implicit-def: $vgpr9
	s_and_saveexec_b64 s[54:55], s[22:23]
	s_cbranch_execz .LBB2_178
; %bb.177:                              ;   in Loop: Header=BB2_98 Depth=3
	v_sub_u32_e32 v2, v46, v2
	v_cndmask_b32_e32 v2, 0, v2, vcc
	v_cmp_lt_i32_e32 vcc, 0, v43
	v_add3_u32 v13, v42, v14, v2
	v_cndmask_b32_e32 v2, 0, v30, vcc
	v_sub_u32_e32 v2, v2, v43
	v_lshl_add_u32 v40, v2, 6, v41
	v_ashrrev_i32_e32 v2, 31, v40
	v_lshrrev_b32_e32 v2, 26, v2
	v_add_u32_e32 v2, v40, v2
	s_mov_b64 s[52:53], exec
	v_ashrrev_i32_e32 v9, 6, v2
.LBB2_178:                              ;   in Loop: Header=BB2_98 Depth=3
	s_or_b64 exec, exec, s[54:55]
	s_and_b64 s[52:53], s[52:53], exec
.LBB2_179:                              ;   in Loop: Header=BB2_98 Depth=3
	s_or_b64 exec, exec, s[50:51]
	s_and_saveexec_b64 s[22:23], s[52:53]
	s_cbranch_execz .LBB2_189
.LBB2_180:                              ;   in Loop: Header=BB2_98 Depth=3
	v_ashrrev_i32_e32 v2, 31, v37
	v_lshrrev_b32_e32 v2, 23, v2
	v_add_u32_e32 v2, v37, v2
	v_ashrrev_i32_e32 v43, 9, v2
	v_sub_u32_e32 v41, v43, v9
	v_ashrrev_i32_e32 v2, 31, v40
	v_cmp_lt_i32_e32 vcc, 0, v41
	v_lshrrev_b32_e32 v42, 26, v2
	s_and_saveexec_b64 s[50:51], vcc
	s_cbranch_execz .LBB2_184
; %bb.181:                              ;   in Loop: Header=BB2_98 Depth=3
	s_trap 2
	ds_read_b64 v[2:3], v0
	v_add_u32_e32 v12, v40, v42
	v_and_b32_e32 v12, 0xffffffc0, v12
	v_sub_u32_e32 v12, v40, v12
	v_lshlrev_b32_e32 v9, 9, v9
	v_add3_u32 v12, v13, v12, v9
	v_ashrrev_i32_e32 v9, 31, v12
	s_mov_b64 s[52:53], 0
	s_waitcnt lgkmcnt(0)
	v_pk_mov_b32 v[14:15], v[2:3], v[2:3] op_sel:[0,1]
.LBB2_182:                              ;   Parent Loop BB2_53 Depth=1
                                        ;     Parent Loop BB2_92 Depth=2
                                        ;       Parent Loop BB2_98 Depth=3
                                        ; =>      This Inner Loop Header: Depth=4
	v_add_co_u32_e32 v48, vcc, v12, v14
	v_addc_co_u32_e32 v49, vcc, v9, v15, vcc
	flat_load_ubyte v50, v[48:49] glc slc
	flat_load_ubyte v51, v[48:49] offset:64 glc slc
	flat_load_ubyte v46, v[48:49] offset:128 glc slc
	;; [unrolled: 1-line block ×7, first 2 shown]
	v_add_co_u32_e32 v48, vcc, v12, v2
	v_addc_co_u32_e32 v49, vcc, v9, v3, vcc
	v_add_co_u32_e32 v14, vcc, v14, v31
	v_addc_co_u32_e32 v15, vcc, v15, v1, vcc
	v_add_co_u32_e32 v2, vcc, v2, v31
	v_sub_u32_e32 v41, v41, v30
	v_addc_co_u32_e32 v3, vcc, v3, v1, vcc
	v_cmp_gt_i32_e32 vcc, 1, v41
	s_or_b64 s[52:53], vcc, s[52:53]
	s_waitcnt vmcnt(0) lgkmcnt(0)
	flat_store_byte v[48:49], v50 glc slc
	flat_store_byte v[48:49], v51 offset:64 glc slc
	flat_store_byte v[48:49], v46 offset:128 glc slc
	;; [unrolled: 1-line block ×7, first 2 shown]
	s_andn2_b64 exec, exec, s[52:53]
	s_cbranch_execnz .LBB2_182
; %bb.183:                              ;   in Loop: Header=BB2_98 Depth=3
	s_or_b64 exec, exec, s[52:53]
	v_accvgpr_read_b32 v61, a7
.LBB2_184:                              ;   in Loop: Header=BB2_98 Depth=3
	s_or_b64 exec, exec, s[50:51]
	v_lshlrev_b32_e32 v2, 9, v43
	v_cmp_ne_u32_e32 vcc, v37, v2
	s_and_saveexec_b64 s[50:51], vcc
	s_cbranch_execz .LBB2_188
; %bb.185:                              ;   in Loop: Header=BB2_98 Depth=3
	v_add_u32_e32 v3, v40, v42
	v_and_b32_e32 v3, 0xffffffc0, v3
	v_sub_u32_e32 v3, v40, v3
	v_lshlrev_b32_e32 v9, 6, v41
	v_sub_u32_e32 v3, v3, v9
	v_add_u32_e32 v9, v2, v3
	v_sub_u32_e32 v14, v37, v9
	v_cmp_lt_i32_e32 vcc, 0, v14
	s_and_b64 exec, exec, vcc
	s_cbranch_execz .LBB2_188
; %bb.186:                              ;   in Loop: Header=BB2_98 Depth=3
	s_trap 2
	ds_read_b64 v[2:3], v0
	v_add_u32_e32 v12, v9, v13
	v_ashrrev_i32_e32 v9, 31, v12
	s_mov_b64 s[52:53], 0
.LBB2_187:                              ;   Parent Loop BB2_53 Depth=1
                                        ;     Parent Loop BB2_92 Depth=2
                                        ;       Parent Loop BB2_98 Depth=3
                                        ; =>      This Inner Loop Header: Depth=4
	s_waitcnt lgkmcnt(0)
	v_add_co_u32_e32 v48, vcc, v2, v12
	v_addc_co_u32_e32 v49, vcc, v3, v9, vcc
	flat_load_ubyte v13, v[48:49] glc slc
	v_add_co_u32_e32 v12, vcc, v12, v54
	v_sub_u32_e32 v14, v14, v54
	v_addc_co_u32_e32 v9, vcc, v9, v21, vcc
	v_cmp_gt_i32_e32 vcc, 1, v14
	s_or_b64 s[52:53], vcc, s[52:53]
	s_waitcnt vmcnt(0) lgkmcnt(0)
	flat_store_byte v[48:49], v13 glc slc
	s_andn2_b64 exec, exec, s[52:53]
	s_cbranch_execnz .LBB2_187
.LBB2_188:                              ;   in Loop: Header=BB2_98 Depth=3
	s_or_b64 exec, exec, s[50:51]
.LBB2_189:                              ;   in Loop: Header=BB2_98 Depth=3
	s_or_b64 exec, exec, s[22:23]
.LBB2_190:                              ;   in Loop: Header=BB2_98 Depth=3
	s_and_saveexec_b64 s[22:23], s[6:7]
	s_cbranch_execz .LBB2_209
; %bb.191:                              ;   in Loop: Header=BB2_98 Depth=3
	s_and_saveexec_b64 vcc, s[28:29]
	s_xor_b64 s[50:51], exec, vcc
	s_cbranch_execz .LBB2_206
; %bb.192:                              ;   in Loop: Header=BB2_98 Depth=3
	s_and_saveexec_b64 s[52:53], s[12:13]
	s_cbranch_execz .LBB2_205
; %bb.193:                              ;   in Loop: Header=BB2_98 Depth=3
	s_mov_b64 s[56:57], exec
	v_mbcnt_lo_u32_b32 v2, s56, 0
	v_mbcnt_hi_u32_b32 v2, s57, v2
	v_cmp_eq_u32_e32 vcc, 0, v2
	s_waitcnt vmcnt(0) lgkmcnt(0)
	buffer_wbinvl1_vol
	s_and_saveexec_b64 s[54:55], vcc
	s_cbranch_execz .LBB2_195
; %bb.194:                              ;   in Loop: Header=BB2_98 Depth=3
	s_bcnt1_i32_b64 vcc_lo, s[56:57]
	v_mov_b32_e32 v2, vcc_lo
	v_mov_b32_e32 v3, v36
	ds_add_u64 v0, v[2:3]
	s_trap 2
.LBB2_195:                              ;   in Loop: Header=BB2_98 Depth=3
	s_or_b64 exec, exec, s[54:55]
	s_trap 2
	ds_read_b64 v[2:3], v0
	v_add_co_u32_e32 v10, vcc, v10, v30
	v_addc_co_u32_e32 v11, vcc, 0, v11, vcc
	s_waitcnt lgkmcnt(0)
	v_cmp_lt_u64_e32 vcc, v[2:3], v[10:11]
	s_and_saveexec_b64 s[54:55], vcc
	s_cbranch_execz .LBB2_204
; %bb.196:                              ;   in Loop: Header=BB2_98 Depth=3
	s_mov_b32 s75, 0
	s_mov_b64 s[56:57], 0
                                        ; implicit-def: $sgpr58_sgpr59
                                        ; implicit-def: $sgpr60_sgpr61
	s_branch .LBB2_198
.LBB2_197:                              ;   in Loop: Header=BB2_198 Depth=4
	s_or_b64 exec, exec, s[64:65]
	s_and_b64 vcc, exec, vcc
	s_or_b64 s[56:57], vcc, s[56:57]
	s_andn2_b64 vcc, s[58:59], exec
	s_and_b64 s[58:59], s[60:61], exec
	s_or_b64 s[58:59], vcc, s[58:59]
	s_andn2_b64 exec, exec, s[56:57]
	s_cbranch_execz .LBB2_202
.LBB2_198:                              ;   Parent Loop BB2_53 Depth=1
                                        ;     Parent Loop BB2_92 Depth=2
                                        ;       Parent Loop BB2_98 Depth=3
                                        ; =>      This Inner Loop Header: Depth=4
	s_add_i32 s75, s75, 1
	s_cmpk_lg_i32 s75, 0x2710
	s_cselect_b64 s[62:63], -1, 0
	s_and_b64 vcc, exec, s[62:63]
                                        ; implicit-def: $sgpr64_sgpr65
	s_cbranch_vccnz .LBB2_200
; %bb.199:                              ;   in Loop: Header=BB2_198 Depth=4
	s_trap 2
	ds_read_b64 v[2:3], v0
	s_andn2_b64 s[62:63], s[62:63], exec
	s_mov_b32 s75, 0
	s_mov_b64 s[64:65], -1
	s_waitcnt lgkmcnt(0)
	flat_load_dword v2, v[2:3] glc
	s_waitcnt vmcnt(0) lgkmcnt(0)
	buffer_invl2
	buffer_wbinvl1_vol
	v_cmp_eq_u32_e32 vcc, 0, v2
	s_and_b64 vcc, vcc, exec
	s_or_b64 s[62:63], s[62:63], vcc
.LBB2_200:                              ;   in Loop: Header=BB2_198 Depth=4
	s_andn2_b64 s[60:61], s[60:61], exec
	s_and_b64 s[64:65], s[64:65], exec
	s_mov_b64 vcc, -1
	s_or_b64 s[60:61], s[60:61], s[64:65]
	s_and_saveexec_b64 s[64:65], s[62:63]
	s_cbranch_execz .LBB2_197
; %bb.201:                              ;   in Loop: Header=BB2_198 Depth=4
	s_sleep 1
	s_trap 2
	ds_read_b64 v[2:3], v0
	s_andn2_b64 s[60:61], s[60:61], exec
	s_waitcnt lgkmcnt(0)
	v_cmp_ge_u64_e32 vcc, v[2:3], v[10:11]
	s_orn2_b64 vcc, vcc, exec
	s_branch .LBB2_197
.LBB2_202:                              ;   in Loop: Header=BB2_98 Depth=3
	s_or_b64 exec, exec, s[56:57]
	s_and_saveexec_b64 vcc, s[58:59]
	s_xor_b64 vcc, exec, vcc
	s_cbranch_execz .LBB2_204
; %bb.203:                              ;   in Loop: Header=BB2_98 Depth=3
	ds_write_b32 v0, v56
	s_trap 2
.LBB2_204:                              ;   in Loop: Header=BB2_98 Depth=3
	s_or_b64 exec, exec, s[54:55]
	;;#ASMSTART
	s_wakeup
	;;#ASMEND
.LBB2_205:                              ;   in Loop: Header=BB2_98 Depth=3
	s_or_b64 exec, exec, s[52:53]
.LBB2_206:                              ;   in Loop: Header=BB2_98 Depth=3
	s_andn2_saveexec_b64 vcc, s[50:51]
	s_cbranch_execz .LBB2_208
; %bb.207:                              ;   in Loop: Header=BB2_98 Depth=3
	s_waitcnt vmcnt(0) lgkmcnt(0)
	buffer_wbinvl1_vol
	s_barrier
.LBB2_208:                              ;   in Loop: Header=BB2_98 Depth=3
	s_or_b64 exec, exec, vcc
.LBB2_209:                              ;   in Loop: Header=BB2_98 Depth=3
	s_or_b64 exec, exec, s[22:23]
	v_and_b32_e32 v2, 16, v55
	v_cmp_lt_i32_e32 vcc, 0, v33
	v_cmp_ne_u32_e64 s[22:23], 0, v2
	s_and_b64 vcc, s[22:23], vcc
	s_and_saveexec_b64 s[22:23], vcc
	s_cbranch_execz .LBB2_211
; %bb.210:                              ;   in Loop: Header=BB2_98 Depth=3
	s_waitcnt vmcnt(0) lgkmcnt(0)
	buffer_wbinvl1_vol
.LBB2_211:                              ;   in Loop: Header=BB2_98 Depth=3
	s_or_b64 exec, exec, s[22:23]
	v_cmp_ne_u32_e32 vcc, 0, v2
	s_and_saveexec_b64 s[22:23], vcc
	s_cbranch_execz .LBB2_97
; %bb.212:                              ;   in Loop: Header=BB2_98 Depth=3
	s_and_saveexec_b64 vcc, s[20:21]
	s_cbranch_execz .LBB2_96
; %bb.213:                              ;   in Loop: Header=BB2_98 Depth=3
	flat_store_dword v[24:25], v56
	s_branch .LBB2_96
.LBB2_214:                              ;   in Loop: Header=BB2_92 Depth=2
	s_or_b64 exec, exec, s[46:47]
	s_or_b64 exec, exec, s[44:45]
	v_cmp_gt_i32_e32 vcc, 2, v2
	s_and_saveexec_b64 s[44:45], vcc
	s_cbranch_execz .LBB2_94
.LBB2_215:                              ;   in Loop: Header=BB2_92 Depth=2
	v_cmp_eq_u32_e64 s[22:23], 0, v2
	s_mov_b64 s[46:47], 0
	s_branch .LBB2_218
.LBB2_216:                              ;   in Loop: Header=BB2_218 Depth=3
	s_or_b64 exec, exec, vcc
	v_add_co_u32_e32 v16, vcc, 2, v16
	v_addc_co_u32_e32 v17, vcc, 0, v17, vcc
	flat_store_dwordx2 v[18:19], v[16:17]
.LBB2_217:                              ;   in Loop: Header=BB2_218 Depth=3
	s_or_b64 exec, exec, s[22:23]
	v_add_u32_e32 v32, v8, v32
	s_mov_b64 s[22:23], 0
	s_andn2_b64 exec, exec, s[46:47]
	s_cbranch_execz .LBB2_264
.LBB2_218:                              ;   Parent Loop BB2_53 Depth=1
                                        ;     Parent Loop BB2_92 Depth=2
                                        ; =>    This Loop Header: Depth=3
                                        ;         Child Loop BB2_224 Depth 4
                                        ;         Child Loop BB2_248 Depth 4
	v_and_b32_e32 v2, 8, v55
	s_mov_b64 s[50:51], -1
	v_cmp_ne_u32_e32 vcc, 0, v2
	s_and_saveexec_b64 s[48:49], vcc
	s_cbranch_execz .LBB2_230
; %bb.219:                              ;   in Loop: Header=BB2_218 Depth=3
	v_add_co_u32_e32 v2, vcc, 8, v26
	v_addc_co_u32_e32 v3, vcc, 0, v27, vcc
	v_add_co_u32_e32 v12, vcc, 2, v16
	v_addc_co_u32_e32 v13, vcc, 0, v17, vcc
	v_cmp_lt_u64_e32 vcc, v[2:3], v[12:13]
	v_mov_b32_e32 v2, 1
	s_and_saveexec_b64 s[50:51], vcc
	s_cbranch_execz .LBB2_229
; %bb.220:                              ;   in Loop: Header=BB2_218 Depth=3
	s_mov_b64 s[52:53], 0
	v_mov_b32_e32 v2, 0
                                        ; implicit-def: $sgpr54_sgpr55
	s_branch .LBB2_224
.LBB2_221:                              ;   in Loop: Header=BB2_224 Depth=4
	s_or_b64 exec, exec, s[62:63]
	v_mov_b32_e32 v3, 0
	s_orn2_b64 s[60:61], s[60:61], exec
.LBB2_222:                              ;   in Loop: Header=BB2_224 Depth=4
	s_or_b64 exec, exec, s[58:59]
	s_andn2_b64 vcc, s[54:55], exec
	s_and_b64 s[54:55], s[60:61], exec
	s_or_b64 s[54:55], vcc, s[54:55]
	v_mov_b32_e32 v2, v3
.LBB2_223:                              ;   in Loop: Header=BB2_224 Depth=4
	s_or_b64 exec, exec, s[56:57]
	s_waitcnt vmcnt(0) lgkmcnt(0)
	v_add_co_u32_e32 v14, vcc, 8, v26
	v_addc_co_u32_e32 v15, vcc, 0, v27, vcc
	v_cmp_ge_u64_e32 vcc, v[14:15], v[12:13]
	s_xor_b64 s[56:57], s[54:55], -1
	s_or_b64 vcc, s[56:57], vcc
	s_and_b64 vcc, exec, vcc
	s_or_b64 s[52:53], vcc, s[52:53]
	s_andn2_b64 exec, exec, s[52:53]
	s_cbranch_execz .LBB2_228
.LBB2_224:                              ;   Parent Loop BB2_53 Depth=1
                                        ;     Parent Loop BB2_92 Depth=2
                                        ;       Parent Loop BB2_218 Depth=3
                                        ; =>      This Inner Loop Header: Depth=4
	s_sleep 1
	flat_load_dwordx2 v[26:27], v[18:19] glc
	v_and_b32_e32 v3, 64, v55
	v_cmp_eq_u32_e32 vcc, 0, v3
	s_andn2_b64 s[54:55], s[54:55], exec
	s_and_saveexec_b64 s[56:57], vcc
	s_cbranch_execz .LBB2_223
; %bb.225:                              ;   in Loop: Header=BB2_224 Depth=4
	v_add_u32_e32 v3, 1, v2
	v_cmp_lt_i32_e32 vcc, s71, v2
	s_mov_b64 s[60:61], -1
	s_and_saveexec_b64 s[58:59], vcc
	s_cbranch_execz .LBB2_222
; %bb.226:                              ;   in Loop: Header=BB2_224 Depth=4
	s_trap 2
	ds_read_b64 v[2:3], v0
	s_waitcnt vmcnt(0) lgkmcnt(0)
	flat_load_dword v2, v[2:3] glc
	s_waitcnt vmcnt(0) lgkmcnt(0)
	buffer_invl2
	buffer_wbinvl1_vol
	v_cmp_ne_u32_e32 vcc, 0, v2
	s_and_saveexec_b64 s[62:63], vcc
	s_cbranch_execz .LBB2_221
; %bb.227:                              ;   in Loop: Header=BB2_224 Depth=4
	v_or_b32_e32 v55, 64, v55
	s_xor_b64 s[60:61], exec, -1
	ds_write_b32 v0, v2
	s_trap 2
	s_branch .LBB2_221
.LBB2_228:                              ;   in Loop: Header=BB2_218 Depth=3
	s_or_b64 exec, exec, s[52:53]
	v_and_b32_e32 v2, 8, v55
.LBB2_229:                              ;   in Loop: Header=BB2_218 Depth=3
	s_or_b64 exec, exec, s[50:51]
	v_cmp_eq_u32_e32 vcc, 0, v2
	s_orn2_b64 s[50:51], vcc, exec
	;;#ASMSTART
	s_wakeup
	;;#ASMEND
.LBB2_230:                              ;   in Loop: Header=BB2_218 Depth=3
	s_or_b64 exec, exec, s[48:49]
	s_xor_b64 s[22:23], s[22:23], -1
	s_and_b64 s[22:23], exec, s[22:23]
	s_or_b64 s[46:47], s[22:23], s[46:47]
	v_sub_u32_e32 v2, v38, v32
	s_xor_b64 s[22:23], s[50:51], -1
	v_min_i32_e32 v8, v8, v2
	s_and_saveexec_b64 s[48:49], s[22:23]
	s_cbranch_execz .LBB2_240
; %bb.231:                              ;   in Loop: Header=BB2_218 Depth=3
	v_and_b32_e32 v2, 0x100, v55
	v_cmp_ne_u32_e32 vcc, 0, v2
	v_and_b32_e32 v14, 7, v16
	s_mov_b64 s[22:23], -1
                                        ; implicit-def: $vgpr2_vgpr3
	s_and_saveexec_b64 s[50:51], vcc
	s_cbranch_execz .LBB2_235
; %bb.232:                              ;   in Loop: Header=BB2_218 Depth=3
	v_mad_u64_u32 v[12:13], s[22:23], v14, 24, v[4:5]
	flat_load_dword v2, v[12:13]
	v_ashrrev_i32_e32 v9, 31, v8
	flat_store_dwordx2 v[12:13], v[8:9] offset:8
	s_waitcnt vmcnt(0) lgkmcnt(0)
	v_cmp_ne_u32_e32 vcc, 1, v2
	v_cmp_eq_u32_e64 s[22:23], 1, v2
                                        ; implicit-def: $vgpr2_vgpr3
	s_and_saveexec_b64 s[52:53], s[22:23]
	s_cbranch_execz .LBB2_234
; %bb.233:                              ;   in Loop: Header=BB2_218 Depth=3
	flat_load_dword v2, v[12:13] offset:4 glc
	s_waitcnt vmcnt(0) lgkmcnt(0)
	v_ashrrev_i32_e32 v3, 31, v2
.LBB2_234:                              ;   in Loop: Header=BB2_218 Depth=3
	s_or_b64 exec, exec, s[52:53]
	s_orn2_b64 s[22:23], vcc, exec
.LBB2_235:                              ;   in Loop: Header=BB2_218 Depth=3
	s_or_b64 exec, exec, s[50:51]
	s_and_saveexec_b64 vcc, s[22:23]
; %bb.236:                              ;   in Loop: Header=BB2_218 Depth=3
	v_mad_i64_i32 v[2:3], s[22:23], v14, v20, 0
; %bb.237:                              ;   in Loop: Header=BB2_218 Depth=3
	s_or_b64 exec, exec, vcc
	v_add_co_u32_e32 v2, vcc, v22, v2
	v_addc_co_u32_e32 v3, vcc, v23, v3, vcc
	ds_write_b64 v0, v[2:3] offset:784
	v_and_b32_e32 v2, 0x2000, v55
	v_cmp_ne_u32_e32 vcc, 0, v2
	s_and_saveexec_b64 s[22:23], vcc
	s_cbranch_execz .LBB2_239
; %bb.238:                              ;   in Loop: Header=BB2_218 Depth=3
	ds_read_b64 v[2:3], v0 offset:584
	s_waitcnt lgkmcnt(0)
	v_add_co_u32_e32 v2, vcc, 1, v2
	v_addc_co_u32_e32 v3, vcc, 0, v3, vcc
	ds_write_b64 v0, v[2:3] offset:584
.LBB2_239:                              ;   in Loop: Header=BB2_218 Depth=3
	s_or_b64 exec, exec, s[22:23]
	v_add_co_u32_e32 v16, vcc, 2, v16
	v_addc_co_u32_e32 v17, vcc, 0, v17, vcc
.LBB2_240:                              ;   in Loop: Header=BB2_218 Depth=3
	s_or_b64 exec, exec, s[48:49]
	s_and_saveexec_b64 s[22:23], s[6:7]
	s_cbranch_execz .LBB2_259
; %bb.241:                              ;   in Loop: Header=BB2_218 Depth=3
	s_and_saveexec_b64 vcc, s[28:29]
	s_xor_b64 s[48:49], exec, vcc
	s_cbranch_execz .LBB2_256
; %bb.242:                              ;   in Loop: Header=BB2_218 Depth=3
	s_and_saveexec_b64 s[50:51], s[12:13]
	s_cbranch_execz .LBB2_255
; %bb.243:                              ;   in Loop: Header=BB2_218 Depth=3
	s_mov_b64 s[54:55], exec
	v_mbcnt_lo_u32_b32 v2, s54, 0
	v_mbcnt_hi_u32_b32 v2, s55, v2
	v_cmp_eq_u32_e32 vcc, 0, v2
	s_waitcnt vmcnt(0) lgkmcnt(0)
	buffer_wbinvl1_vol
	s_and_saveexec_b64 s[52:53], vcc
	s_cbranch_execz .LBB2_245
; %bb.244:                              ;   in Loop: Header=BB2_218 Depth=3
	s_bcnt1_i32_b64 vcc_lo, s[54:55]
	v_mov_b32_e32 v2, vcc_lo
	v_mov_b32_e32 v3, v36
	ds_add_u64 v0, v[2:3]
	s_trap 2
.LBB2_245:                              ;   in Loop: Header=BB2_218 Depth=3
	s_or_b64 exec, exec, s[52:53]
	s_trap 2
	ds_read_b64 v[2:3], v0
	v_add_co_u32_e32 v10, vcc, v10, v30
	v_addc_co_u32_e32 v11, vcc, 0, v11, vcc
	s_waitcnt lgkmcnt(0)
	v_cmp_lt_u64_e32 vcc, v[2:3], v[10:11]
	s_and_saveexec_b64 s[52:53], vcc
	s_cbranch_execz .LBB2_254
; %bb.246:                              ;   in Loop: Header=BB2_218 Depth=3
	s_mov_b32 s64, 0
	s_mov_b64 s[54:55], 0
                                        ; implicit-def: $sgpr56_sgpr57
                                        ; implicit-def: $sgpr58_sgpr59
	s_branch .LBB2_248
.LBB2_247:                              ;   in Loop: Header=BB2_248 Depth=4
	s_or_b64 exec, exec, s[62:63]
	s_and_b64 vcc, exec, vcc
	s_or_b64 s[54:55], vcc, s[54:55]
	s_andn2_b64 vcc, s[56:57], exec
	s_and_b64 s[56:57], s[58:59], exec
	s_or_b64 s[56:57], vcc, s[56:57]
	s_andn2_b64 exec, exec, s[54:55]
	s_cbranch_execz .LBB2_252
.LBB2_248:                              ;   Parent Loop BB2_53 Depth=1
                                        ;     Parent Loop BB2_92 Depth=2
                                        ;       Parent Loop BB2_218 Depth=3
                                        ; =>      This Inner Loop Header: Depth=4
	s_add_i32 s64, s64, 1
	s_cmpk_lg_i32 s64, 0x2710
	s_cselect_b64 s[60:61], -1, 0
	s_and_b64 vcc, exec, s[60:61]
                                        ; implicit-def: $sgpr62_sgpr63
	s_cbranch_vccnz .LBB2_250
; %bb.249:                              ;   in Loop: Header=BB2_248 Depth=4
	s_trap 2
	ds_read_b64 v[2:3], v0
	s_andn2_b64 s[60:61], s[60:61], exec
	s_mov_b32 s64, 0
	s_mov_b64 s[62:63], -1
	s_waitcnt lgkmcnt(0)
	flat_load_dword v2, v[2:3] glc
	s_waitcnt vmcnt(0) lgkmcnt(0)
	buffer_invl2
	buffer_wbinvl1_vol
	v_cmp_eq_u32_e32 vcc, 0, v2
	s_and_b64 vcc, vcc, exec
	s_or_b64 s[60:61], s[60:61], vcc
.LBB2_250:                              ;   in Loop: Header=BB2_248 Depth=4
	s_andn2_b64 s[58:59], s[58:59], exec
	s_and_b64 s[62:63], s[62:63], exec
	s_mov_b64 vcc, -1
	s_or_b64 s[58:59], s[58:59], s[62:63]
	s_and_saveexec_b64 s[62:63], s[60:61]
	s_cbranch_execz .LBB2_247
; %bb.251:                              ;   in Loop: Header=BB2_248 Depth=4
	s_sleep 1
	s_trap 2
	ds_read_b64 v[2:3], v0
	s_andn2_b64 s[58:59], s[58:59], exec
	s_waitcnt lgkmcnt(0)
	v_cmp_ge_u64_e32 vcc, v[2:3], v[10:11]
	s_orn2_b64 vcc, vcc, exec
	s_branch .LBB2_247
.LBB2_252:                              ;   in Loop: Header=BB2_218 Depth=3
	s_or_b64 exec, exec, s[54:55]
	s_and_saveexec_b64 vcc, s[56:57]
	s_xor_b64 vcc, exec, vcc
	s_cbranch_execz .LBB2_254
; %bb.253:                              ;   in Loop: Header=BB2_218 Depth=3
	ds_write_b32 v0, v56
	s_trap 2
.LBB2_254:                              ;   in Loop: Header=BB2_218 Depth=3
	s_or_b64 exec, exec, s[52:53]
	;;#ASMSTART
	s_wakeup
	;;#ASMEND
.LBB2_255:                              ;   in Loop: Header=BB2_218 Depth=3
	s_or_b64 exec, exec, s[50:51]
.LBB2_256:                              ;   in Loop: Header=BB2_218 Depth=3
	s_andn2_saveexec_b64 vcc, s[48:49]
	s_cbranch_execz .LBB2_258
; %bb.257:                              ;   in Loop: Header=BB2_218 Depth=3
	s_waitcnt vmcnt(0) lgkmcnt(0)
	buffer_wbinvl1_vol
	s_barrier
.LBB2_258:                              ;   in Loop: Header=BB2_218 Depth=3
	s_or_b64 exec, exec, vcc
.LBB2_259:                              ;   in Loop: Header=BB2_218 Depth=3
	s_or_b64 exec, exec, s[22:23]
	s_trap 2
	ds_read_b32 v3, v0
	v_cmp_lt_i32_e32 vcc, 0, v8
	v_and_b32_e32 v2, 16, v55
	s_waitcnt lgkmcnt(0)
	v_readfirstlane_b32 s22, v3
	s_cmp_eq_u32 s22, 0
	s_cselect_b64 s[22:23], -1, 0
	s_and_b64 s[22:23], vcc, s[22:23]
	v_cmp_ne_u32_e32 vcc, 0, v2
	s_and_b64 vcc, vcc, s[22:23]
	s_and_saveexec_b64 s[22:23], vcc
	s_cbranch_execz .LBB2_261
; %bb.260:                              ;   in Loop: Header=BB2_218 Depth=3
	s_waitcnt vmcnt(0)
	buffer_wbinvl1_vol
.LBB2_261:                              ;   in Loop: Header=BB2_218 Depth=3
	s_or_b64 exec, exec, s[22:23]
	v_cmp_ne_u32_e32 vcc, 0, v2
	s_and_saveexec_b64 s[22:23], vcc
	s_cbranch_execz .LBB2_217
; %bb.262:                              ;   in Loop: Header=BB2_218 Depth=3
	s_and_saveexec_b64 vcc, s[20:21]
	s_cbranch_execz .LBB2_216
; %bb.263:                              ;   in Loop: Header=BB2_218 Depth=3
	flat_store_dword v[24:25], v56
	s_branch .LBB2_216
.LBB2_264:                              ;   in Loop: Header=BB2_92 Depth=2
	s_or_b64 exec, exec, s[46:47]
	s_or_b64 exec, exec, s[44:45]
	s_andn2_b64 vcc, exec, s[40:41]
	s_cbranch_vccnz .LBB2_447
.LBB2_265:                              ;   in Loop: Header=BB2_92 Depth=2
	s_mov_b32 s74, 0
	s_branch .LBB2_268
.LBB2_266:                              ;   in Loop: Header=BB2_268 Depth=3
	s_or_b64 exec, exec, s[46:47]
.LBB2_267:                              ;   in Loop: Header=BB2_268 Depth=3
	s_or_b64 exec, exec, s[44:45]
	s_add_i32 s74, s74, 1
	s_cmp_ge_i32 s74, s73
	s_cbranch_scc1 .LBB2_447
.LBB2_268:                              ;   Parent Loop BB2_53 Depth=1
                                        ;     Parent Loop BB2_92 Depth=2
                                        ; =>    This Loop Header: Depth=3
                                        ;         Child Loop BB2_272 Depth 4
                                        ;           Child Loop BB2_280 Depth 5
                                        ;           Child Loop BB2_308 Depth 5
	;; [unrolled: 1-line block ×8, first 2 shown]
                                        ;         Child Loop BB2_396 Depth 4
                                        ;           Child Loop BB2_402 Depth 5
                                        ;           Child Loop BB2_430 Depth 5
	v_mov_b32_e32 v2, 0
	v_mov_b32_e32 v8, v39
	;; [unrolled: 1-line block ×3, first 2 shown]
	s_and_saveexec_b64 s[44:45], s[42:43]
	s_cbranch_execnz .LBB2_270
; %bb.269:                              ;   in Loop: Header=BB2_268 Depth=3
	s_or_b64 exec, exec, s[44:45]
	v_cmp_gt_i32_e32 vcc, 2, v2
	s_and_saveexec_b64 s[44:45], vcc
	s_cbranch_execz .LBB2_267
	s_branch .LBB2_394
.LBB2_270:                              ;   in Loop: Header=BB2_268 Depth=3
	s_mov_b32 s75, 1
	s_mov_b64 s[48:49], -1
	s_mov_b64 s[46:47], 0
	v_mov_b32_e32 v40, 0
	v_mov_b32_e32 v8, v39
	s_branch .LBB2_272
.LBB2_271:                              ;   in Loop: Header=BB2_272 Depth=4
	s_or_b64 exec, exec, s[22:23]
	v_add_u32_e32 v40, v8, v40
	v_cmp_ge_i32_e32 vcc, v40, v38
	s_xor_b64 s[22:23], s[48:49], -1
	s_or_b64 s[22:23], s[22:23], vcc
	s_and_b64 s[22:23], exec, s[22:23]
	s_or_b64 s[46:47], s[22:23], s[46:47]
	s_mov_b64 s[48:49], 0
	v_mov_b32_e32 v2, s75
	s_mov_b32 s75, 2
	s_andn2_b64 exec, exec, s[46:47]
	s_cbranch_execz .LBB2_393
.LBB2_272:                              ;   Parent Loop BB2_53 Depth=1
                                        ;     Parent Loop BB2_92 Depth=2
                                        ;       Parent Loop BB2_268 Depth=3
                                        ; =>      This Loop Header: Depth=4
                                        ;           Child Loop BB2_280 Depth 5
                                        ;           Child Loop BB2_308 Depth 5
                                        ;           Child Loop BB2_327 Depth 5
                                        ;           Child Loop BB2_347 Depth 5
                                        ;           Child Loop BB2_352 Depth 5
                                        ;           Child Loop BB2_360 Depth 5
                                        ;           Child Loop BB2_365 Depth 5
                                        ;           Child Loop BB2_376 Depth 5
	s_and_saveexec_b64 s[22:23], s[4:5]
	s_cbranch_execz .LBB2_274
; %bb.273:                              ;   in Loop: Header=BB2_272 Depth=4
	v_mov_b32_e32 v37, v36
	ds_write_b64 v0, v[36:37]
	s_trap 2
.LBB2_274:                              ;   in Loop: Header=BB2_272 Depth=4
	s_or_b64 exec, exec, s[22:23]
	v_and_b32_e32 v2, 12, v55
	v_cmp_ne_u32_e32 vcc, 0, v2
	s_mov_b64 s[50:51], -1
	s_and_saveexec_b64 s[22:23], vcc
	s_cbranch_execz .LBB2_286
; %bb.275:                              ;   in Loop: Header=BB2_272 Depth=4
	v_and_b32_e32 v12, 8, v55
	v_add_co_u32_e32 v2, vcc, v26, v12
	v_addc_co_u32_e32 v3, vcc, 0, v27, vcc
	v_add_co_u32_e32 v14, vcc, 2, v16
	v_addc_co_u32_e32 v15, vcc, 0, v17, vcc
	v_cmp_lt_u64_e32 vcc, v[2:3], v[14:15]
	v_mov_b32_e32 v2, 1
	s_and_saveexec_b64 s[50:51], vcc
	s_cbranch_execz .LBB2_285
; %bb.276:                              ;   in Loop: Header=BB2_272 Depth=4
	s_mov_b64 s[52:53], 0
	v_mov_b32_e32 v2, 0
                                        ; implicit-def: $sgpr54_sgpr55
	s_branch .LBB2_280
.LBB2_277:                              ;   in Loop: Header=BB2_280 Depth=5
	s_or_b64 exec, exec, s[62:63]
	v_mov_b32_e32 v3, 0
	s_orn2_b64 s[60:61], s[60:61], exec
.LBB2_278:                              ;   in Loop: Header=BB2_280 Depth=5
	s_or_b64 exec, exec, s[58:59]
	s_andn2_b64 vcc, s[54:55], exec
	s_and_b64 s[54:55], s[60:61], exec
	s_or_b64 s[54:55], vcc, s[54:55]
	v_mov_b32_e32 v2, v3
.LBB2_279:                              ;   in Loop: Header=BB2_280 Depth=5
	s_or_b64 exec, exec, s[56:57]
	s_waitcnt vmcnt(0) lgkmcnt(0)
	v_add_co_u32_e32 v32, vcc, v26, v12
	v_addc_co_u32_e32 v33, vcc, 0, v27, vcc
	v_cmp_ge_u64_e32 vcc, v[32:33], v[14:15]
	s_xor_b64 s[56:57], s[54:55], -1
	s_or_b64 vcc, s[56:57], vcc
	s_and_b64 vcc, exec, vcc
	s_or_b64 s[52:53], vcc, s[52:53]
	s_andn2_b64 exec, exec, s[52:53]
	s_cbranch_execz .LBB2_284
.LBB2_280:                              ;   Parent Loop BB2_53 Depth=1
                                        ;     Parent Loop BB2_92 Depth=2
                                        ;       Parent Loop BB2_268 Depth=3
                                        ;         Parent Loop BB2_272 Depth=4
                                        ; =>        This Inner Loop Header: Depth=5
	s_sleep 1
	flat_load_dwordx2 v[26:27], v[18:19] glc
	v_and_b32_e32 v3, 64, v55
	v_cmp_eq_u32_e32 vcc, 0, v3
	s_andn2_b64 s[54:55], s[54:55], exec
	s_and_saveexec_b64 s[56:57], vcc
	s_cbranch_execz .LBB2_279
; %bb.281:                              ;   in Loop: Header=BB2_280 Depth=5
	v_add_u32_e32 v3, 1, v2
	v_cmp_lt_i32_e32 vcc, s71, v2
	s_mov_b64 s[60:61], -1
	s_and_saveexec_b64 s[58:59], vcc
	s_cbranch_execz .LBB2_278
; %bb.282:                              ;   in Loop: Header=BB2_280 Depth=5
	s_trap 2
	ds_read_b64 v[2:3], v0
	s_waitcnt vmcnt(0) lgkmcnt(0)
	flat_load_dword v2, v[2:3] glc
	s_waitcnt vmcnt(0) lgkmcnt(0)
	buffer_invl2
	buffer_wbinvl1_vol
	v_cmp_ne_u32_e32 vcc, 0, v2
	s_and_saveexec_b64 s[62:63], vcc
	s_cbranch_execz .LBB2_277
; %bb.283:                              ;   in Loop: Header=BB2_280 Depth=5
	v_or_b32_e32 v55, 64, v55
	s_xor_b64 s[60:61], exec, -1
	ds_write_b32 v0, v2
	s_trap 2
	s_branch .LBB2_277
.LBB2_284:                              ;   in Loop: Header=BB2_272 Depth=4
	s_or_b64 exec, exec, s[52:53]
	v_and_b32_e32 v2, 12, v55
.LBB2_285:                              ;   in Loop: Header=BB2_272 Depth=4
	s_or_b64 exec, exec, s[50:51]
	v_cmp_eq_u32_e32 vcc, 0, v2
	s_orn2_b64 s[50:51], vcc, exec
	;;#ASMSTART
	s_wakeup
	;;#ASMEND
.LBB2_286:                              ;   in Loop: Header=BB2_272 Depth=4
	s_or_b64 exec, exec, s[22:23]
	v_sub_u32_e32 v2, v38, v40
	s_xor_b64 s[22:23], s[50:51], -1
	v_min_i32_e32 v8, v8, v2
	s_and_saveexec_b64 s[50:51], s[22:23]
	s_cbranch_execz .LBB2_300
; %bb.287:                              ;   in Loop: Header=BB2_272 Depth=4
	v_and_b32_e32 v2, 0x108, v55
	v_cmp_ne_u32_e32 vcc, s72, v2
	v_and_b32_e32 v2, 7, v16
	s_and_saveexec_b64 s[22:23], vcc
	s_xor_b64 s[22:23], exec, s[22:23]
                                        ; implicit-def: $vgpr12_vgpr13
; %bb.288:                              ;   in Loop: Header=BB2_272 Depth=4
	v_mov_b32_e32 v13, v36
; %bb.289:                              ;   in Loop: Header=BB2_272 Depth=4
	s_andn2_saveexec_b64 s[22:23], s[22:23]
	s_cbranch_execz .LBB2_291
; %bb.290:                              ;   in Loop: Header=BB2_272 Depth=4
	v_mov_b32_e32 v13, v36
	v_mad_u64_u32 v[14:15], vcc, v2, 24, v[4:5]
	v_ashrrev_i32_e32 v9, 31, v8
	flat_store_dwordx2 v[14:15], v[8:9] offset:8
.LBB2_291:                              ;   in Loop: Header=BB2_272 Depth=4
	s_or_b64 exec, exec, s[22:23]
	v_and_b32_e32 v3, 0x100, v55
	v_cmp_ne_u32_e32 vcc, 0, v3
	s_mov_b64 s[22:23], -1
                                        ; implicit-def: $vgpr14_vgpr15
	s_and_saveexec_b64 s[52:53], vcc
	s_cbranch_execz .LBB2_295
; %bb.292:                              ;   in Loop: Header=BB2_272 Depth=4
	v_mad_u64_u32 v[32:33], s[22:23], v2, 24, v[4:5]
	v_mov_b32_e32 v12, v33
	v_mad_u64_u32 v[14:15], s[22:23], v13, 24, v[12:13]
	v_mov_b32_e32 v33, v14
	flat_load_dword v3, v[32:33]
                                        ; implicit-def: $vgpr14_vgpr15
	s_waitcnt vmcnt(0) lgkmcnt(0)
	v_cmp_ne_u32_e32 vcc, 1, v3
	v_cmp_eq_u32_e64 s[22:23], 1, v3
	s_and_saveexec_b64 s[54:55], s[22:23]
	s_cbranch_execz .LBB2_294
; %bb.293:                              ;   in Loop: Header=BB2_272 Depth=4
	flat_load_dword v14, v[32:33] offset:4 glc
	s_waitcnt vmcnt(0) lgkmcnt(0)
	v_ashrrev_i32_e32 v15, 31, v14
.LBB2_294:                              ;   in Loop: Header=BB2_272 Depth=4
	s_or_b64 exec, exec, s[54:55]
	s_orn2_b64 s[22:23], vcc, exec
.LBB2_295:                              ;   in Loop: Header=BB2_272 Depth=4
	s_or_b64 exec, exec, s[52:53]
	s_and_saveexec_b64 vcc, s[22:23]
; %bb.296:                              ;   in Loop: Header=BB2_272 Depth=4
	v_mul_lo_u32 v3, v13, v20
	v_mul_lo_u32 v9, v2, v53
	v_mad_u64_u32 v[14:15], s[22:23], v2, v20, 0
	v_add3_u32 v15, v15, v9, v3
; %bb.297:                              ;   in Loop: Header=BB2_272 Depth=4
	s_or_b64 exec, exec, vcc
	v_add_co_u32_e32 v2, vcc, v22, v14
	v_addc_co_u32_e32 v3, vcc, v23, v15, vcc
	s_trap 2
	ds_write_b64 v0, v[2:3]
	v_and_b32_e32 v2, 0x2000, v55
	v_cmp_ne_u32_e32 vcc, 0, v2
	s_and_saveexec_b64 s[22:23], vcc
	s_cbranch_execz .LBB2_299
; %bb.298:                              ;   in Loop: Header=BB2_272 Depth=4
	ds_read_b64 v[2:3], v0 offset:584
	s_waitcnt lgkmcnt(0)
	v_add_co_u32_e32 v2, vcc, 1, v2
	v_addc_co_u32_e32 v3, vcc, 0, v3, vcc
	ds_write_b64 v0, v[2:3] offset:584
.LBB2_299:                              ;   in Loop: Header=BB2_272 Depth=4
	s_or_b64 exec, exec, s[22:23]
	v_add_co_u32_e32 v16, vcc, 2, v16
	v_addc_co_u32_e32 v17, vcc, 0, v17, vcc
.LBB2_300:                              ;   in Loop: Header=BB2_272 Depth=4
	s_or_b64 exec, exec, s[50:51]
	s_and_saveexec_b64 s[22:23], s[6:7]
	s_cbranch_execz .LBB2_319
; %bb.301:                              ;   in Loop: Header=BB2_272 Depth=4
	s_and_saveexec_b64 vcc, s[28:29]
	s_xor_b64 s[50:51], exec, vcc
	s_cbranch_execz .LBB2_316
; %bb.302:                              ;   in Loop: Header=BB2_272 Depth=4
	s_and_saveexec_b64 s[52:53], s[12:13]
	s_cbranch_execz .LBB2_315
; %bb.303:                              ;   in Loop: Header=BB2_272 Depth=4
	s_mov_b64 s[56:57], exec
	v_mbcnt_lo_u32_b32 v2, s56, 0
	v_mbcnt_hi_u32_b32 v2, s57, v2
	v_cmp_eq_u32_e32 vcc, 0, v2
	s_waitcnt vmcnt(0) lgkmcnt(0)
	buffer_wbinvl1_vol
	s_and_saveexec_b64 s[54:55], vcc
	s_cbranch_execz .LBB2_305
; %bb.304:                              ;   in Loop: Header=BB2_272 Depth=4
	s_bcnt1_i32_b64 vcc_lo, s[56:57]
	v_mov_b32_e32 v2, vcc_lo
	v_mov_b32_e32 v3, v36
	ds_add_u64 v0, v[2:3]
	s_trap 2
.LBB2_305:                              ;   in Loop: Header=BB2_272 Depth=4
	s_or_b64 exec, exec, s[54:55]
	s_trap 2
	ds_read_b64 v[2:3], v0
	v_add_co_u32_e32 v10, vcc, v10, v30
	v_addc_co_u32_e32 v11, vcc, 0, v11, vcc
	s_waitcnt lgkmcnt(0)
	v_cmp_lt_u64_e32 vcc, v[2:3], v[10:11]
	s_and_saveexec_b64 s[54:55], vcc
	s_cbranch_execz .LBB2_314
; %bb.306:                              ;   in Loop: Header=BB2_272 Depth=4
	s_mov_b32 s76, 0
	s_mov_b64 s[56:57], 0
                                        ; implicit-def: $sgpr58_sgpr59
                                        ; implicit-def: $sgpr60_sgpr61
	s_branch .LBB2_308
.LBB2_307:                              ;   in Loop: Header=BB2_308 Depth=5
	s_or_b64 exec, exec, s[64:65]
	s_and_b64 vcc, exec, vcc
	s_or_b64 s[56:57], vcc, s[56:57]
	s_andn2_b64 vcc, s[58:59], exec
	s_and_b64 s[58:59], s[60:61], exec
	s_or_b64 s[58:59], vcc, s[58:59]
	s_andn2_b64 exec, exec, s[56:57]
	s_cbranch_execz .LBB2_312
.LBB2_308:                              ;   Parent Loop BB2_53 Depth=1
                                        ;     Parent Loop BB2_92 Depth=2
                                        ;       Parent Loop BB2_268 Depth=3
                                        ;         Parent Loop BB2_272 Depth=4
                                        ; =>        This Inner Loop Header: Depth=5
	s_add_i32 s76, s76, 1
	s_cmpk_lg_i32 s76, 0x2710
	s_cselect_b64 s[62:63], -1, 0
	s_and_b64 vcc, exec, s[62:63]
                                        ; implicit-def: $sgpr64_sgpr65
	s_cbranch_vccnz .LBB2_310
; %bb.309:                              ;   in Loop: Header=BB2_308 Depth=5
	s_trap 2
	ds_read_b64 v[2:3], v0
	s_andn2_b64 s[62:63], s[62:63], exec
	s_mov_b32 s76, 0
	s_mov_b64 s[64:65], -1
	s_waitcnt lgkmcnt(0)
	flat_load_dword v2, v[2:3] glc
	s_waitcnt vmcnt(0) lgkmcnt(0)
	buffer_invl2
	buffer_wbinvl1_vol
	v_cmp_eq_u32_e32 vcc, 0, v2
	s_and_b64 vcc, vcc, exec
	s_or_b64 s[62:63], s[62:63], vcc
.LBB2_310:                              ;   in Loop: Header=BB2_308 Depth=5
	s_andn2_b64 s[60:61], s[60:61], exec
	s_and_b64 s[64:65], s[64:65], exec
	s_mov_b64 vcc, -1
	s_or_b64 s[60:61], s[60:61], s[64:65]
	s_and_saveexec_b64 s[64:65], s[62:63]
	s_cbranch_execz .LBB2_307
; %bb.311:                              ;   in Loop: Header=BB2_308 Depth=5
	s_sleep 1
	s_trap 2
	ds_read_b64 v[2:3], v0
	s_andn2_b64 s[60:61], s[60:61], exec
	s_waitcnt lgkmcnt(0)
	v_cmp_ge_u64_e32 vcc, v[2:3], v[10:11]
	s_orn2_b64 vcc, vcc, exec
	s_branch .LBB2_307
.LBB2_312:                              ;   in Loop: Header=BB2_272 Depth=4
	s_or_b64 exec, exec, s[56:57]
	s_and_saveexec_b64 vcc, s[58:59]
	s_xor_b64 vcc, exec, vcc
	s_cbranch_execz .LBB2_314
; %bb.313:                              ;   in Loop: Header=BB2_272 Depth=4
	ds_write_b32 v0, v56
	s_trap 2
.LBB2_314:                              ;   in Loop: Header=BB2_272 Depth=4
	s_or_b64 exec, exec, s[54:55]
	;;#ASMSTART
	s_wakeup
	;;#ASMEND
.LBB2_315:                              ;   in Loop: Header=BB2_272 Depth=4
	s_or_b64 exec, exec, s[52:53]
.LBB2_316:                              ;   in Loop: Header=BB2_272 Depth=4
	s_andn2_saveexec_b64 vcc, s[50:51]
	s_cbranch_execz .LBB2_318
; %bb.317:                              ;   in Loop: Header=BB2_272 Depth=4
	s_waitcnt vmcnt(0) lgkmcnt(0)
	buffer_wbinvl1_vol
	s_barrier
.LBB2_318:                              ;   in Loop: Header=BB2_272 Depth=4
	s_or_b64 exec, exec, vcc
.LBB2_319:                              ;   in Loop: Header=BB2_272 Depth=4
	s_or_b64 exec, exec, s[22:23]
	s_trap 2
	ds_read_b32 v2, v0
	v_and_b32_e32 v3, 0x4000, v55
	v_cmp_ne_u32_e32 vcc, 0, v3
	s_xor_b64 s[22:23], s[14:15], -1
	s_and_b64 vcc, s[22:23], vcc
	s_and_saveexec_b64 s[22:23], vcc
	s_cbranch_execz .LBB2_338
; %bb.320:                              ;   in Loop: Header=BB2_272 Depth=4
	s_and_saveexec_b64 vcc, s[28:29]
	s_xor_b64 s[50:51], exec, vcc
	s_cbranch_execz .LBB2_335
; %bb.321:                              ;   in Loop: Header=BB2_272 Depth=4
	s_and_saveexec_b64 s[52:53], s[12:13]
	s_cbranch_execz .LBB2_334
; %bb.322:                              ;   in Loop: Header=BB2_272 Depth=4
	s_mov_b64 s[56:57], exec
	v_mbcnt_lo_u32_b32 v3, s56, 0
	v_mbcnt_hi_u32_b32 v3, s57, v3
	v_cmp_eq_u32_e32 vcc, 0, v3
	s_waitcnt vmcnt(0) lgkmcnt(0)
	buffer_wbinvl1_vol
	s_and_saveexec_b64 s[54:55], vcc
	s_cbranch_execz .LBB2_324
; %bb.323:                              ;   in Loop: Header=BB2_272 Depth=4
	s_bcnt1_i32_b64 vcc_lo, s[56:57]
	v_mov_b32_e32 v12, vcc_lo
	v_mov_b32_e32 v13, v36
	ds_add_u64 v0, v[12:13]
	s_trap 2
.LBB2_324:                              ;   in Loop: Header=BB2_272 Depth=4
	s_or_b64 exec, exec, s[54:55]
	s_trap 2
	ds_read_b64 v[12:13], v0
	v_add_co_u32_e32 v10, vcc, v10, v30
	v_addc_co_u32_e32 v11, vcc, 0, v11, vcc
	s_waitcnt lgkmcnt(0)
	v_cmp_lt_u64_e32 vcc, v[12:13], v[10:11]
	s_and_saveexec_b64 s[54:55], vcc
	s_cbranch_execz .LBB2_333
; %bb.325:                              ;   in Loop: Header=BB2_272 Depth=4
	s_mov_b32 s76, 0
	s_mov_b64 s[56:57], 0
                                        ; implicit-def: $sgpr58_sgpr59
                                        ; implicit-def: $sgpr60_sgpr61
	s_branch .LBB2_327
.LBB2_326:                              ;   in Loop: Header=BB2_327 Depth=5
	s_or_b64 exec, exec, s[64:65]
	s_and_b64 vcc, exec, vcc
	s_or_b64 s[56:57], vcc, s[56:57]
	s_andn2_b64 vcc, s[58:59], exec
	s_and_b64 s[58:59], s[60:61], exec
	s_or_b64 s[58:59], vcc, s[58:59]
	s_andn2_b64 exec, exec, s[56:57]
	s_cbranch_execz .LBB2_331
.LBB2_327:                              ;   Parent Loop BB2_53 Depth=1
                                        ;     Parent Loop BB2_92 Depth=2
                                        ;       Parent Loop BB2_268 Depth=3
                                        ;         Parent Loop BB2_272 Depth=4
                                        ; =>        This Inner Loop Header: Depth=5
	s_add_i32 s76, s76, 1
	s_cmpk_lg_i32 s76, 0x2710
	s_cselect_b64 s[62:63], -1, 0
	s_and_b64 vcc, exec, s[62:63]
                                        ; implicit-def: $sgpr64_sgpr65
	s_cbranch_vccnz .LBB2_329
; %bb.328:                              ;   in Loop: Header=BB2_327 Depth=5
	s_trap 2
	ds_read_b64 v[12:13], v0
	s_andn2_b64 s[62:63], s[62:63], exec
	s_mov_b32 s76, 0
	s_mov_b64 s[64:65], -1
	s_waitcnt lgkmcnt(0)
	flat_load_dword v3, v[12:13] glc
	s_waitcnt vmcnt(0) lgkmcnt(0)
	buffer_invl2
	buffer_wbinvl1_vol
	v_cmp_eq_u32_e32 vcc, 0, v3
	s_and_b64 vcc, vcc, exec
	s_or_b64 s[62:63], s[62:63], vcc
.LBB2_329:                              ;   in Loop: Header=BB2_327 Depth=5
	s_andn2_b64 s[60:61], s[60:61], exec
	s_and_b64 s[64:65], s[64:65], exec
	s_mov_b64 vcc, -1
	s_or_b64 s[60:61], s[60:61], s[64:65]
	s_and_saveexec_b64 s[64:65], s[62:63]
	s_cbranch_execz .LBB2_326
; %bb.330:                              ;   in Loop: Header=BB2_327 Depth=5
	s_sleep 1
	s_trap 2
	ds_read_b64 v[12:13], v0
	s_andn2_b64 s[60:61], s[60:61], exec
	s_waitcnt lgkmcnt(0)
	v_cmp_ge_u64_e32 vcc, v[12:13], v[10:11]
	s_orn2_b64 vcc, vcc, exec
	s_branch .LBB2_326
.LBB2_331:                              ;   in Loop: Header=BB2_272 Depth=4
	s_or_b64 exec, exec, s[56:57]
	s_and_saveexec_b64 vcc, s[58:59]
	s_xor_b64 vcc, exec, vcc
	s_cbranch_execz .LBB2_333
; %bb.332:                              ;   in Loop: Header=BB2_272 Depth=4
	ds_write_b32 v0, v56
	s_trap 2
.LBB2_333:                              ;   in Loop: Header=BB2_272 Depth=4
	s_or_b64 exec, exec, s[54:55]
	;;#ASMSTART
	s_wakeup
	;;#ASMEND
.LBB2_334:                              ;   in Loop: Header=BB2_272 Depth=4
	s_or_b64 exec, exec, s[52:53]
.LBB2_335:                              ;   in Loop: Header=BB2_272 Depth=4
	s_andn2_saveexec_b64 vcc, s[50:51]
	s_cbranch_execz .LBB2_337
; %bb.336:                              ;   in Loop: Header=BB2_272 Depth=4
	s_waitcnt vmcnt(0) lgkmcnt(0)
	buffer_wbinvl1_vol
	s_barrier
.LBB2_337:                              ;   in Loop: Header=BB2_272 Depth=4
	s_or_b64 exec, exec, vcc
.LBB2_338:                              ;   in Loop: Header=BB2_272 Depth=4
	s_or_b64 exec, exec, s[22:23]
	s_trap 2
	ds_read_b64 v[12:13], v0
	v_mov_b32_e32 v32, 0
	s_waitcnt lgkmcnt(0)
	v_readfirstlane_b32 s22, v12
	v_readfirstlane_b32 s23, v13
	s_cmp_eq_u64 s[22:23], 0
	s_cselect_b64 s[22:23], -1, 0
	s_or_b64 s[22:23], s[22:23], s[22:23]
	s_and_b64 vcc, exec, s[22:23]
	s_cbranch_vccnz .LBB2_368
; %bb.339:                              ;   in Loop: Header=BB2_272 Depth=4
	s_mov_b64 s[22:23], -1
	s_and_saveexec_b64 s[50:51], s[16:17]
	s_cbranch_execz .LBB2_341
; %bb.340:                              ;   in Loop: Header=BB2_272 Depth=4
	ds_read_b32 v3, v0 offset:720
	s_waitcnt lgkmcnt(0)
	v_and_b32_e32 v3, 15, v3
	v_cmp_eq_u32_e32 vcc, 0, v3
	s_orn2_b64 s[22:23], vcc, exec
.LBB2_341:                              ;   in Loop: Header=BB2_272 Depth=4
	s_or_b64 exec, exec, s[50:51]
	s_and_saveexec_b64 s[50:51], s[16:17]
	s_cbranch_execz .LBB2_343
; %bb.342:                              ;   in Loop: Header=BB2_272 Depth=4
	ds_read_b32 v3, v0 offset:784
	s_waitcnt lgkmcnt(0)
	v_and_b32_e32 v3, 15, v3
	v_cmp_eq_u32_e32 vcc, 0, v3
	s_and_b64 vcc, s[22:23], vcc
	s_andn2_b64 s[22:23], s[22:23], exec
	s_and_b64 vcc, vcc, exec
	s_or_b64 s[22:23], s[22:23], vcc
.LBB2_343:                              ;   in Loop: Header=BB2_272 Depth=4
	s_or_b64 exec, exec, s[50:51]
	v_cmp_eq_u32_e32 vcc, 0, v2
	s_xor_b64 s[22:23], s[22:23], -1
	v_cndmask_b32_e32 v32, 0, v8, vcc
	v_cndmask_b32_e64 v2, 0, 1, s[22:23]
	v_mov_b32_e32 v13, 0
	s_mov_b64 s[52:53], -1
	;;#ASMSTART
	;;#ASMEND
	v_cmp_ne_u32_e32 vcc, 0, v2
	v_mov_b32_e32 v33, v32
	v_mov_b32_e32 v37, v0
	v_mov_b32_e32 v9, v34
	s_cbranch_vccz .LBB2_345
; %bb.344:                              ;   in Loop: Header=BB2_272 Depth=4
	s_and_saveexec_b64 s[22:23], s[52:53]
	s_cbranch_execnz .LBB2_358
	s_branch .LBB2_367
.LBB2_345:                              ;   in Loop: Header=BB2_272 Depth=4
	v_ashrrev_i32_e32 v2, 31, v32
	v_lshrrev_b32_e32 v2, 22, v2
	v_add_u32_e32 v2, v32, v2
	v_and_b32_e32 v14, 0xfffffc00, v2
	v_sub_u32_e32 v42, v32, v14
	v_ashrrev_i32_e32 v3, 10, v2
	v_cmp_lt_i32_e32 vcc, 15, v42
	v_sub_u32_e32 v9, v32, v44
	v_addc_co_u32_e64 v41, s[22:23], v3, v47, vcc
	v_cmp_lt_i32_e64 s[22:23], 15, v9
	s_and_saveexec_b64 s[50:51], s[22:23]
	s_cbranch_execz .LBB2_349
; %bb.346:                              ;   in Loop: Header=BB2_272 Depth=4
	s_trap 2
	ds_read_b64 v[2:3], v0
	s_mov_b64 s[52:53], 0
	v_pk_mov_b32 v[12:13], v[44:45], v[44:45] op_sel:[0,1]
.LBB2_347:                              ;   Parent Loop BB2_53 Depth=1
                                        ;     Parent Loop BB2_92 Depth=2
                                        ;       Parent Loop BB2_268 Depth=3
                                        ;         Parent Loop BB2_272 Depth=4
                                        ; =>        This Inner Loop Header: Depth=5
	s_waitcnt lgkmcnt(0)
	v_add_co_u32_e64 v58, s[22:23], v2, v12
	v_addc_co_u32_e64 v59, s[22:23], v3, v13, s[22:23]
	global_load_dwordx4 v[48:51], v[58:59], off glc slc
	v_add_co_u32_e64 v12, s[22:23], v12, v29
	v_sub_u32_e32 v9, v9, v52
	v_addc_co_u32_e64 v13, s[22:23], v13, v62, s[22:23]
	v_cmp_gt_i32_e64 s[22:23], 16, v9
	v_sub_u32_e32 v41, v41, v30
	s_or_b64 s[52:53], s[22:23], s[52:53]
	s_waitcnt vmcnt(0)
	global_store_dwordx4 v[58:59], v[48:51], off glc slc
	s_andn2_b64 exec, exec, s[52:53]
	s_cbranch_execnz .LBB2_347
; %bb.348:                              ;   in Loop: Header=BB2_272 Depth=4
	s_or_b64 exec, exec, s[52:53]
.LBB2_349:                              ;   in Loop: Header=BB2_272 Depth=4
	s_or_b64 exec, exec, s[50:51]
	v_and_b32_e32 v2, 15, v32
	v_cndmask_b32_e32 v15, v42, v2, vcc
	v_cmp_ne_u32_e64 s[22:23], 0, v15
	s_mov_b64 s[52:53], 0
	v_mov_b32_e32 v13, 0
                                        ; implicit-def: $vgpr33
                                        ; implicit-def: $vgpr37
                                        ; implicit-def: $vgpr9
	s_and_saveexec_b64 s[50:51], s[22:23]
	s_cbranch_execz .LBB2_357
; %bb.350:                              ;   in Loop: Header=BB2_272 Depth=4
	v_sub_u32_e32 v2, v42, v2
	v_cndmask_b32_e32 v2, 0, v2, vcc
	v_cmp_lt_i32_e32 vcc, 0, v41
	v_add_u32_e32 v14, v2, v14
	v_cndmask_b32_e32 v2, 0, v30, vcc
	v_sub_u32_e32 v2, v2, v41
	v_lshl_add_u32 v2, v2, 6, v61
	v_ashrrev_i32_e32 v3, 31, v2
	v_lshrrev_b32_e32 v3, 26, v3
	v_add_u32_e32 v3, v2, v3
	v_ashrrev_i32_e32 v12, 6, v3
	v_and_b32_e32 v3, 0xffffffc0, v3
	v_sub_u32_e32 v41, v2, v3
	v_lshlrev_b32_e32 v2, 4, v41
	v_lshl_add_u32 v9, v12, 10, v2
	v_ashrrev_i32_e32 v2, 31, v15
	v_lshrrev_b32_e32 v2, 22, v2
	v_add_u32_e32 v2, v15, v2
	v_and_b32_e32 v42, 0xfffffc00, v2
	v_sub_u32_e32 v46, v15, v42
	v_ashrrev_i32_e32 v3, 10, v2
	v_cmp_lt_i32_e32 vcc, 15, v46
	v_sub_u32_e32 v13, v15, v9
	v_addc_co_u32_e64 v2, s[22:23], 0, v3, vcc
	v_sub_u32_e32 v43, v2, v12
	v_cmp_lt_i32_e64 s[22:23], 15, v13
	s_and_saveexec_b64 s[52:53], s[22:23]
	s_cbranch_execz .LBB2_354
; %bb.351:                              ;   in Loop: Header=BB2_272 Depth=4
	s_trap 2
	ds_read_b64 v[2:3], v0
	v_add_u32_e32 v12, v9, v14
	v_ashrrev_i32_e32 v9, 31, v12
	s_mov_b64 s[54:55], 0
.LBB2_352:                              ;   Parent Loop BB2_53 Depth=1
                                        ;     Parent Loop BB2_92 Depth=2
                                        ;       Parent Loop BB2_268 Depth=3
                                        ;         Parent Loop BB2_272 Depth=4
                                        ; =>        This Inner Loop Header: Depth=5
	s_waitcnt lgkmcnt(0)
	v_add_co_u32_e64 v58, s[22:23], v2, v12
	v_addc_co_u32_e64 v59, s[22:23], v3, v9, s[22:23]
	global_load_dwordx4 v[48:51], v[58:59], off glc slc
	v_add_co_u32_e64 v12, s[22:23], v12, v29
	v_sub_u32_e32 v13, v13, v52
	v_addc_co_u32_e64 v9, s[22:23], v9, v62, s[22:23]
	v_cmp_gt_i32_e64 s[22:23], 16, v13
	v_sub_u32_e32 v43, v43, v30
	s_or_b64 s[54:55], s[22:23], s[54:55]
	s_waitcnt vmcnt(0)
	global_store_dwordx4 v[58:59], v[48:51], off glc slc
	s_andn2_b64 exec, exec, s[54:55]
	s_cbranch_execnz .LBB2_352
; %bb.353:                              ;   in Loop: Header=BB2_272 Depth=4
	s_or_b64 exec, exec, s[54:55]
.LBB2_354:                              ;   in Loop: Header=BB2_272 Depth=4
	s_or_b64 exec, exec, s[52:53]
	v_and_b32_e32 v2, 15, v15
	v_cndmask_b32_e32 v33, v46, v2, vcc
	v_cmp_ne_u32_e64 s[22:23], 0, v33
	s_mov_b64 s[52:53], 0
	v_mov_b32_e32 v13, 0
                                        ; implicit-def: $vgpr37
                                        ; implicit-def: $vgpr9
	s_and_saveexec_b64 s[54:55], s[22:23]
	s_cbranch_execz .LBB2_356
; %bb.355:                              ;   in Loop: Header=BB2_272 Depth=4
	v_sub_u32_e32 v2, v46, v2
	v_cndmask_b32_e32 v2, 0, v2, vcc
	v_cmp_lt_i32_e32 vcc, 0, v43
	v_add3_u32 v13, v42, v14, v2
	v_cndmask_b32_e32 v2, 0, v30, vcc
	v_sub_u32_e32 v2, v2, v43
	v_lshl_add_u32 v37, v2, 6, v41
	v_ashrrev_i32_e32 v2, 31, v37
	v_lshrrev_b32_e32 v2, 26, v2
	v_add_u32_e32 v2, v37, v2
	s_mov_b64 s[52:53], exec
	v_ashrrev_i32_e32 v9, 6, v2
.LBB2_356:                              ;   in Loop: Header=BB2_272 Depth=4
	s_or_b64 exec, exec, s[54:55]
	s_and_b64 s[52:53], s[52:53], exec
.LBB2_357:                              ;   in Loop: Header=BB2_272 Depth=4
	s_or_b64 exec, exec, s[50:51]
	s_and_saveexec_b64 s[22:23], s[52:53]
	s_cbranch_execz .LBB2_367
.LBB2_358:                              ;   in Loop: Header=BB2_272 Depth=4
	v_ashrrev_i32_e32 v2, 31, v33
	v_lshrrev_b32_e32 v2, 23, v2
	v_add_u32_e32 v2, v33, v2
	v_ashrrev_i32_e32 v43, 9, v2
	v_sub_u32_e32 v41, v43, v9
	v_ashrrev_i32_e32 v2, 31, v37
	v_cmp_lt_i32_e32 vcc, 0, v41
	v_lshrrev_b32_e32 v42, 26, v2
	s_and_saveexec_b64 s[50:51], vcc
	s_cbranch_execz .LBB2_362
; %bb.359:                              ;   in Loop: Header=BB2_272 Depth=4
	s_trap 2
	ds_read_b64 v[2:3], v0
	v_add_u32_e32 v12, v37, v42
	v_and_b32_e32 v12, 0xffffffc0, v12
	v_sub_u32_e32 v12, v37, v12
	v_lshlrev_b32_e32 v9, 9, v9
	v_add3_u32 v12, v13, v12, v9
	v_ashrrev_i32_e32 v9, 31, v12
	s_mov_b64 s[52:53], 0
	s_waitcnt lgkmcnt(0)
	v_pk_mov_b32 v[14:15], v[2:3], v[2:3] op_sel:[0,1]
.LBB2_360:                              ;   Parent Loop BB2_53 Depth=1
                                        ;     Parent Loop BB2_92 Depth=2
                                        ;       Parent Loop BB2_268 Depth=3
                                        ;         Parent Loop BB2_272 Depth=4
                                        ; =>        This Inner Loop Header: Depth=5
	v_add_co_u32_e32 v48, vcc, v12, v14
	v_addc_co_u32_e32 v49, vcc, v9, v15, vcc
	flat_load_ubyte v28, v[48:49] glc slc
	flat_load_ubyte v50, v[48:49] offset:64 glc slc
	flat_load_ubyte v51, v[48:49] offset:128 glc slc
	;; [unrolled: 1-line block ×7, first 2 shown]
	v_add_co_u32_e32 v48, vcc, v12, v2
	v_addc_co_u32_e32 v49, vcc, v9, v3, vcc
	v_add_co_u32_e32 v14, vcc, v14, v31
	v_addc_co_u32_e32 v15, vcc, v15, v1, vcc
	v_add_co_u32_e32 v2, vcc, v2, v31
	v_sub_u32_e32 v41, v41, v30
	v_addc_co_u32_e32 v3, vcc, v3, v1, vcc
	v_cmp_gt_i32_e32 vcc, 1, v41
	s_or_b64 s[52:53], vcc, s[52:53]
	s_waitcnt vmcnt(0) lgkmcnt(0)
	flat_store_byte v[48:49], v28 glc slc
	flat_store_byte v[48:49], v50 offset:64 glc slc
	flat_store_byte v[48:49], v51 offset:128 glc slc
	;; [unrolled: 1-line block ×7, first 2 shown]
	s_andn2_b64 exec, exec, s[52:53]
	s_cbranch_execnz .LBB2_360
; %bb.361:                              ;   in Loop: Header=BB2_272 Depth=4
	s_or_b64 exec, exec, s[52:53]
.LBB2_362:                              ;   in Loop: Header=BB2_272 Depth=4
	s_or_b64 exec, exec, s[50:51]
	v_lshlrev_b32_e32 v2, 9, v43
	v_cmp_ne_u32_e32 vcc, v33, v2
	s_and_saveexec_b64 s[50:51], vcc
	s_cbranch_execz .LBB2_366
; %bb.363:                              ;   in Loop: Header=BB2_272 Depth=4
	v_add_u32_e32 v3, v37, v42
	v_and_b32_e32 v3, 0xffffffc0, v3
	v_sub_u32_e32 v3, v37, v3
	v_lshlrev_b32_e32 v9, 6, v41
	v_sub_u32_e32 v3, v3, v9
	v_add_u32_e32 v9, v2, v3
	v_sub_u32_e32 v14, v33, v9
	v_cmp_lt_i32_e32 vcc, 0, v14
	s_and_b64 exec, exec, vcc
	s_cbranch_execz .LBB2_366
; %bb.364:                              ;   in Loop: Header=BB2_272 Depth=4
	s_trap 2
	ds_read_b64 v[2:3], v0
	v_add_u32_e32 v12, v9, v13
	v_ashrrev_i32_e32 v9, 31, v12
	s_mov_b64 s[52:53], 0
.LBB2_365:                              ;   Parent Loop BB2_53 Depth=1
                                        ;     Parent Loop BB2_92 Depth=2
                                        ;       Parent Loop BB2_268 Depth=3
                                        ;         Parent Loop BB2_272 Depth=4
                                        ; =>        This Inner Loop Header: Depth=5
	s_waitcnt lgkmcnt(0)
	v_add_co_u32_e32 v48, vcc, v2, v12
	v_addc_co_u32_e32 v49, vcc, v3, v9, vcc
	flat_load_ubyte v13, v[48:49] glc slc
	v_add_co_u32_e32 v12, vcc, v12, v54
	v_sub_u32_e32 v14, v14, v54
	v_addc_co_u32_e32 v9, vcc, v9, v21, vcc
	v_cmp_gt_i32_e32 vcc, 1, v14
	s_or_b64 s[52:53], vcc, s[52:53]
	s_waitcnt vmcnt(0) lgkmcnt(0)
	flat_store_byte v[48:49], v13 glc slc
	s_andn2_b64 exec, exec, s[52:53]
	s_cbranch_execnz .LBB2_365
.LBB2_366:                              ;   in Loop: Header=BB2_272 Depth=4
	s_or_b64 exec, exec, s[50:51]
.LBB2_367:                              ;   in Loop: Header=BB2_272 Depth=4
	s_or_b64 exec, exec, s[22:23]
.LBB2_368:                              ;   in Loop: Header=BB2_272 Depth=4
	s_and_saveexec_b64 s[22:23], s[6:7]
	s_cbranch_execz .LBB2_387
; %bb.369:                              ;   in Loop: Header=BB2_272 Depth=4
	s_and_saveexec_b64 vcc, s[28:29]
	s_xor_b64 s[50:51], exec, vcc
	s_cbranch_execz .LBB2_384
; %bb.370:                              ;   in Loop: Header=BB2_272 Depth=4
	s_and_saveexec_b64 s[52:53], s[12:13]
	s_cbranch_execz .LBB2_383
; %bb.371:                              ;   in Loop: Header=BB2_272 Depth=4
	s_mov_b64 s[56:57], exec
	v_mbcnt_lo_u32_b32 v2, s56, 0
	v_mbcnt_hi_u32_b32 v2, s57, v2
	v_cmp_eq_u32_e32 vcc, 0, v2
	s_waitcnt vmcnt(0) lgkmcnt(0)
	buffer_wbinvl1_vol
	s_and_saveexec_b64 s[54:55], vcc
	s_cbranch_execz .LBB2_373
; %bb.372:                              ;   in Loop: Header=BB2_272 Depth=4
	s_bcnt1_i32_b64 vcc_lo, s[56:57]
	v_mov_b32_e32 v2, vcc_lo
	v_mov_b32_e32 v3, v36
	ds_add_u64 v0, v[2:3]
	s_trap 2
.LBB2_373:                              ;   in Loop: Header=BB2_272 Depth=4
	s_or_b64 exec, exec, s[54:55]
	s_trap 2
	ds_read_b64 v[2:3], v0
	v_add_co_u32_e32 v10, vcc, v10, v30
	v_addc_co_u32_e32 v11, vcc, 0, v11, vcc
	s_waitcnt lgkmcnt(0)
	v_cmp_lt_u64_e32 vcc, v[2:3], v[10:11]
	s_and_saveexec_b64 s[54:55], vcc
	s_cbranch_execz .LBB2_382
; %bb.374:                              ;   in Loop: Header=BB2_272 Depth=4
	s_mov_b32 s76, 0
	s_mov_b64 s[56:57], 0
                                        ; implicit-def: $sgpr58_sgpr59
                                        ; implicit-def: $sgpr60_sgpr61
	s_branch .LBB2_376
.LBB2_375:                              ;   in Loop: Header=BB2_376 Depth=5
	s_or_b64 exec, exec, s[64:65]
	s_and_b64 vcc, exec, vcc
	s_or_b64 s[56:57], vcc, s[56:57]
	s_andn2_b64 vcc, s[58:59], exec
	s_and_b64 s[58:59], s[60:61], exec
	s_or_b64 s[58:59], vcc, s[58:59]
	s_andn2_b64 exec, exec, s[56:57]
	s_cbranch_execz .LBB2_380
.LBB2_376:                              ;   Parent Loop BB2_53 Depth=1
                                        ;     Parent Loop BB2_92 Depth=2
                                        ;       Parent Loop BB2_268 Depth=3
                                        ;         Parent Loop BB2_272 Depth=4
                                        ; =>        This Inner Loop Header: Depth=5
	s_add_i32 s76, s76, 1
	s_cmpk_lg_i32 s76, 0x2710
	s_cselect_b64 s[62:63], -1, 0
	s_and_b64 vcc, exec, s[62:63]
                                        ; implicit-def: $sgpr64_sgpr65
	s_cbranch_vccnz .LBB2_378
; %bb.377:                              ;   in Loop: Header=BB2_376 Depth=5
	s_trap 2
	ds_read_b64 v[2:3], v0
	s_andn2_b64 s[62:63], s[62:63], exec
	s_mov_b32 s76, 0
	s_mov_b64 s[64:65], -1
	s_waitcnt lgkmcnt(0)
	flat_load_dword v2, v[2:3] glc
	s_waitcnt vmcnt(0) lgkmcnt(0)
	buffer_invl2
	buffer_wbinvl1_vol
	v_cmp_eq_u32_e32 vcc, 0, v2
	s_and_b64 vcc, vcc, exec
	s_or_b64 s[62:63], s[62:63], vcc
.LBB2_378:                              ;   in Loop: Header=BB2_376 Depth=5
	s_andn2_b64 s[60:61], s[60:61], exec
	s_and_b64 s[64:65], s[64:65], exec
	s_mov_b64 vcc, -1
	s_or_b64 s[60:61], s[60:61], s[64:65]
	s_and_saveexec_b64 s[64:65], s[62:63]
	s_cbranch_execz .LBB2_375
; %bb.379:                              ;   in Loop: Header=BB2_376 Depth=5
	s_sleep 1
	s_trap 2
	ds_read_b64 v[2:3], v0
	s_andn2_b64 s[60:61], s[60:61], exec
	s_waitcnt lgkmcnt(0)
	v_cmp_ge_u64_e32 vcc, v[2:3], v[10:11]
	s_orn2_b64 vcc, vcc, exec
	s_branch .LBB2_375
.LBB2_380:                              ;   in Loop: Header=BB2_272 Depth=4
	s_or_b64 exec, exec, s[56:57]
	s_and_saveexec_b64 vcc, s[58:59]
	s_xor_b64 vcc, exec, vcc
	s_cbranch_execz .LBB2_382
; %bb.381:                              ;   in Loop: Header=BB2_272 Depth=4
	ds_write_b32 v0, v56
	s_trap 2
.LBB2_382:                              ;   in Loop: Header=BB2_272 Depth=4
	s_or_b64 exec, exec, s[54:55]
	;;#ASMSTART
	s_wakeup
	;;#ASMEND
.LBB2_383:                              ;   in Loop: Header=BB2_272 Depth=4
	s_or_b64 exec, exec, s[52:53]
.LBB2_384:                              ;   in Loop: Header=BB2_272 Depth=4
	s_andn2_saveexec_b64 vcc, s[50:51]
	s_cbranch_execz .LBB2_386
; %bb.385:                              ;   in Loop: Header=BB2_272 Depth=4
	s_waitcnt vmcnt(0) lgkmcnt(0)
	buffer_wbinvl1_vol
	s_barrier
.LBB2_386:                              ;   in Loop: Header=BB2_272 Depth=4
	s_or_b64 exec, exec, vcc
.LBB2_387:                              ;   in Loop: Header=BB2_272 Depth=4
	s_or_b64 exec, exec, s[22:23]
	v_and_b32_e32 v2, 16, v55
	v_cmp_lt_i32_e32 vcc, 0, v32
	v_cmp_ne_u32_e64 s[22:23], 0, v2
	s_and_b64 vcc, s[22:23], vcc
	s_and_saveexec_b64 s[22:23], vcc
	s_cbranch_execz .LBB2_389
; %bb.388:                              ;   in Loop: Header=BB2_272 Depth=4
	s_waitcnt vmcnt(0) lgkmcnt(0)
	buffer_wbinvl1_vol
.LBB2_389:                              ;   in Loop: Header=BB2_272 Depth=4
	s_or_b64 exec, exec, s[22:23]
	v_cmp_ne_u32_e32 vcc, 0, v2
	s_xor_b64 s[22:23], s[18:19], -1
	s_and_b64 vcc, vcc, s[22:23]
	s_and_saveexec_b64 s[22:23], vcc
	s_cbranch_execz .LBB2_391
; %bb.390:                              ;   in Loop: Header=BB2_272 Depth=4
	flat_store_dword v[24:25], v56
.LBB2_391:                              ;   in Loop: Header=BB2_272 Depth=4
	s_or_b64 exec, exec, s[22:23]
	v_and_b32_e32 v2, 48, v55
	v_cmp_ne_u32_e32 vcc, 0, v2
	s_and_saveexec_b64 s[22:23], vcc
	s_cbranch_execz .LBB2_271
; %bb.392:                              ;   in Loop: Header=BB2_272 Depth=4
	v_add_co_u32_e32 v16, vcc, 2, v16
	v_addc_co_u32_e32 v17, vcc, 0, v17, vcc
	flat_store_dwordx2 v[18:19], v[16:17]
	s_branch .LBB2_271
.LBB2_393:                              ;   in Loop: Header=BB2_268 Depth=3
	s_or_b64 exec, exec, s[46:47]
	s_or_b64 exec, exec, s[44:45]
	v_cmp_gt_i32_e32 vcc, 2, v2
	s_and_saveexec_b64 s[44:45], vcc
	s_cbranch_execz .LBB2_267
.LBB2_394:                              ;   in Loop: Header=BB2_268 Depth=3
	v_cmp_eq_u32_e64 s[22:23], 0, v2
	s_mov_b64 s[46:47], 0
	s_branch .LBB2_396
.LBB2_395:                              ;   in Loop: Header=BB2_396 Depth=4
	s_or_b64 exec, exec, s[22:23]
	v_add_u32_e32 v40, v8, v40
	s_mov_b64 s[22:23], 0
	s_andn2_b64 exec, exec, s[46:47]
	s_cbranch_execz .LBB2_266
.LBB2_396:                              ;   Parent Loop BB2_53 Depth=1
                                        ;     Parent Loop BB2_92 Depth=2
                                        ;       Parent Loop BB2_268 Depth=3
                                        ; =>      This Loop Header: Depth=4
                                        ;           Child Loop BB2_402 Depth 5
                                        ;           Child Loop BB2_430 Depth 5
	v_and_b32_e32 v2, 12, v55
	s_mov_b64 s[50:51], -1
	v_cmp_ne_u32_e32 vcc, 0, v2
	s_and_saveexec_b64 s[48:49], vcc
	s_cbranch_execz .LBB2_408
; %bb.397:                              ;   in Loop: Header=BB2_396 Depth=4
	v_and_b32_e32 v12, 8, v55
	v_add_co_u32_e32 v2, vcc, v26, v12
	v_addc_co_u32_e32 v3, vcc, 0, v27, vcc
	v_add_co_u32_e32 v14, vcc, 2, v16
	v_addc_co_u32_e32 v15, vcc, 0, v17, vcc
	v_cmp_lt_u64_e32 vcc, v[2:3], v[14:15]
	v_mov_b32_e32 v2, 1
	s_and_saveexec_b64 s[50:51], vcc
	s_cbranch_execz .LBB2_407
; %bb.398:                              ;   in Loop: Header=BB2_396 Depth=4
	s_mov_b64 s[52:53], 0
	v_mov_b32_e32 v2, 0
                                        ; implicit-def: $sgpr54_sgpr55
	s_branch .LBB2_402
.LBB2_399:                              ;   in Loop: Header=BB2_402 Depth=5
	s_or_b64 exec, exec, s[62:63]
	v_mov_b32_e32 v3, 0
	s_orn2_b64 s[60:61], s[60:61], exec
.LBB2_400:                              ;   in Loop: Header=BB2_402 Depth=5
	s_or_b64 exec, exec, s[58:59]
	s_andn2_b64 vcc, s[54:55], exec
	s_and_b64 s[54:55], s[60:61], exec
	s_or_b64 s[54:55], vcc, s[54:55]
	v_mov_b32_e32 v2, v3
.LBB2_401:                              ;   in Loop: Header=BB2_402 Depth=5
	s_or_b64 exec, exec, s[56:57]
	s_waitcnt vmcnt(0) lgkmcnt(0)
	v_add_co_u32_e32 v32, vcc, v26, v12
	v_addc_co_u32_e32 v33, vcc, 0, v27, vcc
	v_cmp_ge_u64_e32 vcc, v[32:33], v[14:15]
	s_xor_b64 s[56:57], s[54:55], -1
	s_or_b64 vcc, s[56:57], vcc
	s_and_b64 vcc, exec, vcc
	s_or_b64 s[52:53], vcc, s[52:53]
	s_andn2_b64 exec, exec, s[52:53]
	s_cbranch_execz .LBB2_406
.LBB2_402:                              ;   Parent Loop BB2_53 Depth=1
                                        ;     Parent Loop BB2_92 Depth=2
                                        ;       Parent Loop BB2_268 Depth=3
                                        ;         Parent Loop BB2_396 Depth=4
                                        ; =>        This Inner Loop Header: Depth=5
	s_sleep 1
	flat_load_dwordx2 v[26:27], v[18:19] glc
	v_and_b32_e32 v3, 64, v55
	v_cmp_eq_u32_e32 vcc, 0, v3
	s_andn2_b64 s[54:55], s[54:55], exec
	s_and_saveexec_b64 s[56:57], vcc
	s_cbranch_execz .LBB2_401
; %bb.403:                              ;   in Loop: Header=BB2_402 Depth=5
	v_add_u32_e32 v3, 1, v2
	v_cmp_lt_i32_e32 vcc, s71, v2
	s_mov_b64 s[60:61], -1
	s_and_saveexec_b64 s[58:59], vcc
	s_cbranch_execz .LBB2_400
; %bb.404:                              ;   in Loop: Header=BB2_402 Depth=5
	s_trap 2
	ds_read_b64 v[2:3], v0
	s_waitcnt vmcnt(0) lgkmcnt(0)
	flat_load_dword v2, v[2:3] glc
	s_waitcnt vmcnt(0) lgkmcnt(0)
	buffer_invl2
	buffer_wbinvl1_vol
	v_cmp_ne_u32_e32 vcc, 0, v2
	s_and_saveexec_b64 s[62:63], vcc
	s_cbranch_execz .LBB2_399
; %bb.405:                              ;   in Loop: Header=BB2_402 Depth=5
	v_or_b32_e32 v55, 64, v55
	s_xor_b64 s[60:61], exec, -1
	ds_write_b32 v0, v2
	s_trap 2
	s_branch .LBB2_399
.LBB2_406:                              ;   in Loop: Header=BB2_396 Depth=4
	s_or_b64 exec, exec, s[52:53]
	v_and_b32_e32 v2, 12, v55
.LBB2_407:                              ;   in Loop: Header=BB2_396 Depth=4
	s_or_b64 exec, exec, s[50:51]
	v_cmp_eq_u32_e32 vcc, 0, v2
	s_orn2_b64 s[50:51], vcc, exec
	;;#ASMSTART
	s_wakeup
	;;#ASMEND
.LBB2_408:                              ;   in Loop: Header=BB2_396 Depth=4
	s_or_b64 exec, exec, s[48:49]
	s_xor_b64 s[22:23], s[22:23], -1
	s_and_b64 s[22:23], exec, s[22:23]
	s_or_b64 s[46:47], s[22:23], s[46:47]
	v_sub_u32_e32 v2, v38, v40
	s_xor_b64 s[22:23], s[50:51], -1
	v_min_i32_e32 v8, v8, v2
	s_and_saveexec_b64 s[48:49], s[22:23]
	s_cbranch_execz .LBB2_422
; %bb.409:                              ;   in Loop: Header=BB2_396 Depth=4
	v_and_b32_e32 v2, 0x108, v55
	v_cmp_ne_u32_e32 vcc, s72, v2
	v_and_b32_e32 v2, 7, v16
	s_and_saveexec_b64 s[22:23], vcc
	s_xor_b64 s[22:23], exec, s[22:23]
                                        ; implicit-def: $vgpr12_vgpr13
; %bb.410:                              ;   in Loop: Header=BB2_396 Depth=4
	v_mov_b32_e32 v13, v36
; %bb.411:                              ;   in Loop: Header=BB2_396 Depth=4
	s_andn2_saveexec_b64 s[22:23], s[22:23]
	s_cbranch_execz .LBB2_413
; %bb.412:                              ;   in Loop: Header=BB2_396 Depth=4
	v_mov_b32_e32 v13, v36
	v_mad_u64_u32 v[14:15], vcc, v2, 24, v[4:5]
	v_ashrrev_i32_e32 v9, 31, v8
	flat_store_dwordx2 v[14:15], v[8:9] offset:8
.LBB2_413:                              ;   in Loop: Header=BB2_396 Depth=4
	s_or_b64 exec, exec, s[22:23]
	v_and_b32_e32 v3, 0x100, v55
	v_cmp_ne_u32_e32 vcc, 0, v3
	s_mov_b64 s[22:23], -1
                                        ; implicit-def: $vgpr14_vgpr15
	s_and_saveexec_b64 s[50:51], vcc
	s_cbranch_execz .LBB2_417
; %bb.414:                              ;   in Loop: Header=BB2_396 Depth=4
	v_mad_u64_u32 v[32:33], s[22:23], v2, 24, v[4:5]
	v_mov_b32_e32 v12, v33
	v_mad_u64_u32 v[14:15], s[22:23], v13, 24, v[12:13]
	v_mov_b32_e32 v33, v14
	flat_load_dword v3, v[32:33]
                                        ; implicit-def: $vgpr14_vgpr15
	s_waitcnt vmcnt(0) lgkmcnt(0)
	v_cmp_ne_u32_e32 vcc, 1, v3
	v_cmp_eq_u32_e64 s[22:23], 1, v3
	s_and_saveexec_b64 s[52:53], s[22:23]
	s_cbranch_execz .LBB2_416
; %bb.415:                              ;   in Loop: Header=BB2_396 Depth=4
	flat_load_dword v14, v[32:33] offset:4 glc
	s_waitcnt vmcnt(0) lgkmcnt(0)
	v_ashrrev_i32_e32 v15, 31, v14
.LBB2_416:                              ;   in Loop: Header=BB2_396 Depth=4
	s_or_b64 exec, exec, s[52:53]
	s_orn2_b64 s[22:23], vcc, exec
.LBB2_417:                              ;   in Loop: Header=BB2_396 Depth=4
	s_or_b64 exec, exec, s[50:51]
	s_and_saveexec_b64 vcc, s[22:23]
; %bb.418:                              ;   in Loop: Header=BB2_396 Depth=4
	v_mul_lo_u32 v3, v13, v20
	v_mul_lo_u32 v9, v2, v53
	v_mad_u64_u32 v[14:15], s[22:23], v2, v20, 0
	v_add3_u32 v15, v15, v9, v3
; %bb.419:                              ;   in Loop: Header=BB2_396 Depth=4
	s_or_b64 exec, exec, vcc
	v_add_co_u32_e32 v2, vcc, v22, v14
	v_addc_co_u32_e32 v3, vcc, v23, v15, vcc
	s_trap 2
	ds_write_b64 v0, v[2:3]
	v_and_b32_e32 v2, 0x2000, v55
	v_cmp_ne_u32_e32 vcc, 0, v2
	s_and_saveexec_b64 s[22:23], vcc
	s_cbranch_execz .LBB2_421
; %bb.420:                              ;   in Loop: Header=BB2_396 Depth=4
	ds_read_b64 v[2:3], v0 offset:584
	s_waitcnt lgkmcnt(0)
	v_add_co_u32_e32 v2, vcc, 1, v2
	v_addc_co_u32_e32 v3, vcc, 0, v3, vcc
	ds_write_b64 v0, v[2:3] offset:584
.LBB2_421:                              ;   in Loop: Header=BB2_396 Depth=4
	s_or_b64 exec, exec, s[22:23]
	v_add_co_u32_e32 v16, vcc, 2, v16
	v_addc_co_u32_e32 v17, vcc, 0, v17, vcc
.LBB2_422:                              ;   in Loop: Header=BB2_396 Depth=4
	s_or_b64 exec, exec, s[48:49]
	s_and_saveexec_b64 s[22:23], s[6:7]
	s_cbranch_execz .LBB2_441
; %bb.423:                              ;   in Loop: Header=BB2_396 Depth=4
	s_and_saveexec_b64 vcc, s[28:29]
	s_xor_b64 s[48:49], exec, vcc
	s_cbranch_execz .LBB2_438
; %bb.424:                              ;   in Loop: Header=BB2_396 Depth=4
	s_and_saveexec_b64 s[50:51], s[12:13]
	s_cbranch_execz .LBB2_437
; %bb.425:                              ;   in Loop: Header=BB2_396 Depth=4
	s_mov_b64 s[54:55], exec
	v_mbcnt_lo_u32_b32 v2, s54, 0
	v_mbcnt_hi_u32_b32 v2, s55, v2
	v_cmp_eq_u32_e32 vcc, 0, v2
	s_waitcnt vmcnt(0) lgkmcnt(0)
	buffer_wbinvl1_vol
	s_and_saveexec_b64 s[52:53], vcc
	s_cbranch_execz .LBB2_427
; %bb.426:                              ;   in Loop: Header=BB2_396 Depth=4
	s_bcnt1_i32_b64 vcc_lo, s[54:55]
	v_mov_b32_e32 v2, vcc_lo
	v_mov_b32_e32 v3, v36
	ds_add_u64 v0, v[2:3]
	s_trap 2
.LBB2_427:                              ;   in Loop: Header=BB2_396 Depth=4
	s_or_b64 exec, exec, s[52:53]
	s_trap 2
	ds_read_b64 v[2:3], v0
	v_add_co_u32_e32 v10, vcc, v10, v30
	v_addc_co_u32_e32 v11, vcc, 0, v11, vcc
	s_waitcnt lgkmcnt(0)
	v_cmp_lt_u64_e32 vcc, v[2:3], v[10:11]
	s_and_saveexec_b64 s[52:53], vcc
	s_cbranch_execz .LBB2_436
; %bb.428:                              ;   in Loop: Header=BB2_396 Depth=4
	s_mov_b32 s64, 0
	s_mov_b64 s[54:55], 0
                                        ; implicit-def: $sgpr56_sgpr57
                                        ; implicit-def: $sgpr58_sgpr59
	s_branch .LBB2_430
.LBB2_429:                              ;   in Loop: Header=BB2_430 Depth=5
	s_or_b64 exec, exec, s[62:63]
	s_and_b64 vcc, exec, vcc
	s_or_b64 s[54:55], vcc, s[54:55]
	s_andn2_b64 vcc, s[56:57], exec
	s_and_b64 s[56:57], s[58:59], exec
	s_or_b64 s[56:57], vcc, s[56:57]
	s_andn2_b64 exec, exec, s[54:55]
	s_cbranch_execz .LBB2_434
.LBB2_430:                              ;   Parent Loop BB2_53 Depth=1
                                        ;     Parent Loop BB2_92 Depth=2
                                        ;       Parent Loop BB2_268 Depth=3
                                        ;         Parent Loop BB2_396 Depth=4
                                        ; =>        This Inner Loop Header: Depth=5
	s_add_i32 s64, s64, 1
	s_cmpk_lg_i32 s64, 0x2710
	s_cselect_b64 s[60:61], -1, 0
	s_and_b64 vcc, exec, s[60:61]
                                        ; implicit-def: $sgpr62_sgpr63
	s_cbranch_vccnz .LBB2_432
; %bb.431:                              ;   in Loop: Header=BB2_430 Depth=5
	s_trap 2
	ds_read_b64 v[2:3], v0
	s_andn2_b64 s[60:61], s[60:61], exec
	s_mov_b32 s64, 0
	s_mov_b64 s[62:63], -1
	s_waitcnt lgkmcnt(0)
	flat_load_dword v2, v[2:3] glc
	s_waitcnt vmcnt(0) lgkmcnt(0)
	buffer_invl2
	buffer_wbinvl1_vol
	v_cmp_eq_u32_e32 vcc, 0, v2
	s_and_b64 vcc, vcc, exec
	s_or_b64 s[60:61], s[60:61], vcc
.LBB2_432:                              ;   in Loop: Header=BB2_430 Depth=5
	s_andn2_b64 s[58:59], s[58:59], exec
	s_and_b64 s[62:63], s[62:63], exec
	s_mov_b64 vcc, -1
	s_or_b64 s[58:59], s[58:59], s[62:63]
	s_and_saveexec_b64 s[62:63], s[60:61]
	s_cbranch_execz .LBB2_429
; %bb.433:                              ;   in Loop: Header=BB2_430 Depth=5
	s_sleep 1
	s_trap 2
	ds_read_b64 v[2:3], v0
	s_andn2_b64 s[58:59], s[58:59], exec
	s_waitcnt lgkmcnt(0)
	v_cmp_ge_u64_e32 vcc, v[2:3], v[10:11]
	s_orn2_b64 vcc, vcc, exec
	s_branch .LBB2_429
.LBB2_434:                              ;   in Loop: Header=BB2_396 Depth=4
	s_or_b64 exec, exec, s[54:55]
	s_and_saveexec_b64 vcc, s[56:57]
	s_xor_b64 vcc, exec, vcc
	s_cbranch_execz .LBB2_436
; %bb.435:                              ;   in Loop: Header=BB2_396 Depth=4
	ds_write_b32 v0, v56
	s_trap 2
.LBB2_436:                              ;   in Loop: Header=BB2_396 Depth=4
	s_or_b64 exec, exec, s[52:53]
	;;#ASMSTART
	s_wakeup
	;;#ASMEND
.LBB2_437:                              ;   in Loop: Header=BB2_396 Depth=4
	s_or_b64 exec, exec, s[50:51]
.LBB2_438:                              ;   in Loop: Header=BB2_396 Depth=4
	s_andn2_saveexec_b64 vcc, s[48:49]
	s_cbranch_execz .LBB2_440
; %bb.439:                              ;   in Loop: Header=BB2_396 Depth=4
	s_waitcnt vmcnt(0) lgkmcnt(0)
	buffer_wbinvl1_vol
	s_barrier
.LBB2_440:                              ;   in Loop: Header=BB2_396 Depth=4
	s_or_b64 exec, exec, vcc
.LBB2_441:                              ;   in Loop: Header=BB2_396 Depth=4
	s_or_b64 exec, exec, s[22:23]
	s_trap 2
	ds_read_b32 v3, v0
	v_cmp_lt_i32_e32 vcc, 0, v8
	v_and_b32_e32 v2, 16, v55
	s_waitcnt lgkmcnt(0)
	v_readfirstlane_b32 s22, v3
	s_cmp_eq_u32 s22, 0
	s_cselect_b64 s[22:23], -1, 0
	s_and_b64 s[22:23], vcc, s[22:23]
	v_cmp_ne_u32_e32 vcc, 0, v2
	s_and_b64 vcc, vcc, s[22:23]
	s_and_saveexec_b64 s[22:23], vcc
	s_cbranch_execz .LBB2_443
; %bb.442:                              ;   in Loop: Header=BB2_396 Depth=4
	s_waitcnt vmcnt(0)
	buffer_wbinvl1_vol
.LBB2_443:                              ;   in Loop: Header=BB2_396 Depth=4
	s_or_b64 exec, exec, s[22:23]
	v_cmp_ne_u32_e32 vcc, 0, v2
	s_xor_b64 s[22:23], s[18:19], -1
	s_and_b64 vcc, vcc, s[22:23]
	s_and_saveexec_b64 s[22:23], vcc
	s_cbranch_execz .LBB2_445
; %bb.444:                              ;   in Loop: Header=BB2_396 Depth=4
	flat_store_dword v[24:25], v56
.LBB2_445:                              ;   in Loop: Header=BB2_396 Depth=4
	s_or_b64 exec, exec, s[22:23]
	v_and_b32_e32 v2, 48, v55
	v_cmp_ne_u32_e32 vcc, 0, v2
	s_and_saveexec_b64 s[22:23], vcc
	s_cbranch_execz .LBB2_395
; %bb.446:                              ;   in Loop: Header=BB2_396 Depth=4
	v_add_co_u32_e32 v16, vcc, 2, v16
	v_addc_co_u32_e32 v17, vcc, 0, v17, vcc
	flat_store_dwordx2 v[18:19], v[16:17]
	s_branch .LBB2_395
.LBB2_447:                              ;   in Loop: Header=BB2_92 Depth=2
	v_accvgpr_read_b32 v2, a28
	v_add_co_u32_e32 v33, vcc, v6, v2
	v_accvgpr_read_b32 v2, a29
	v_max_i32_e32 v14, 0, v33
	v_addc_co_u32_e32 v37, vcc, v7, v2, vcc
	v_add_u32_e32 v2, 31, v14
	v_lshrrev_b32_e32 v2, 1, v2
	v_and_b32_e32 v2, 0x3ffffff0, v2
	v_cmp_lt_i32_e32 vcc, 0, v33
	v_max_i32_e32 v15, s68, v2
	s_and_b64 s[22:23], s[30:31], vcc
	v_mov_b32_e32 v2, 0
	v_mov_b32_e32 v32, 0
	s_and_saveexec_b64 s[42:43], s[22:23]
	s_cbranch_execz .LBB2_566
; %bb.448:                              ;   in Loop: Header=BB2_92 Depth=2
	s_mov_b32 s64, 1
	s_mov_b64 s[46:47], -1
	s_mov_b64 s[44:45], 0
	v_mov_b32_e32 v32, 0
	s_branch .LBB2_450
.LBB2_449:                              ;   in Loop: Header=BB2_450 Depth=3
	s_or_b64 exec, exec, s[22:23]
	v_add_u32_e32 v32, v15, v32
	v_cmp_ge_i32_e32 vcc, v32, v14
	s_xor_b64 s[22:23], s[46:47], -1
	s_or_b64 s[22:23], s[22:23], vcc
	s_and_b64 s[22:23], exec, s[22:23]
	s_or_b64 s[44:45], s[22:23], s[44:45]
	s_mov_b64 s[46:47], 0
	v_mov_b32_e32 v2, s64
	s_mov_b32 s64, 2
	s_andn2_b64 exec, exec, s[44:45]
	s_cbranch_execz .LBB2_565
.LBB2_450:                              ;   Parent Loop BB2_53 Depth=1
                                        ;     Parent Loop BB2_92 Depth=2
                                        ; =>    This Loop Header: Depth=3
                                        ;         Child Loop BB2_460 Depth 4
                                        ;         Child Loop BB2_482 Depth 4
	;; [unrolled: 1-line block ×8, first 2 shown]
	s_and_saveexec_b64 s[22:23], s[4:5]
	s_cbranch_execz .LBB2_452
; %bb.451:                              ;   in Loop: Header=BB2_450 Depth=3
	s_trap 2
	ds_read_b128 v[38:41], v0
	v_ashrrev_i32_e32 v8, 31, v32
	s_waitcnt lgkmcnt(0)
	v_add_co_u32_e32 v2, vcc, v38, v33
	v_addc_co_u32_e32 v3, vcc, v39, v37, vcc
	v_add_co_u32_e32 v2, vcc, v2, v32
	v_addc_co_u32_e32 v3, vcc, v3, v8, vcc
	ds_write_b64 v0, v[2:3]
	v_add_co_u32_e32 v2, vcc, v40, v33
	v_addc_co_u32_e32 v3, vcc, v41, v37, vcc
	v_add_co_u32_e32 v2, vcc, v2, v32
	v_addc_co_u32_e32 v3, vcc, v3, v8, vcc
	v_cmp_ne_u64_e32 vcc, 0, v[40:41]
	v_cndmask_b32_e32 v3, 0, v3, vcc
	v_cndmask_b32_e32 v2, 0, v2, vcc
	ds_write_b64 v0, v[2:3]
.LBB2_452:                              ;   in Loop: Header=BB2_450 Depth=3
	s_or_b64 exec, exec, s[22:23]
	v_and_b32_e32 v2, 4, v55
	v_cmp_ne_u32_e32 vcc, 0, v2
	s_mov_b64 s[48:49], -1
	s_and_saveexec_b64 s[22:23], vcc
	s_cbranch_execnz .LBB2_455
; %bb.453:                              ;   in Loop: Header=BB2_450 Depth=3
	s_or_b64 exec, exec, s[22:23]
	s_xor_b64 s[22:23], s[48:49], -1
	s_and_saveexec_b64 s[48:49], s[22:23]
	s_cbranch_execnz .LBB2_466
.LBB2_454:                              ;   in Loop: Header=BB2_450 Depth=3
	s_or_b64 exec, exec, s[48:49]
	s_and_saveexec_b64 s[22:23], s[6:7]
	s_cbranch_execnz .LBB2_475
	s_branch .LBB2_493
.LBB2_455:                              ;   in Loop: Header=BB2_450 Depth=3
	v_add_co_u32_e32 v8, vcc, 2, v16
	v_addc_co_u32_e32 v9, vcc, 0, v17, vcc
	v_cmp_lt_u64_e32 vcc, v[26:27], v[8:9]
	v_mov_b32_e32 v2, 1
	s_and_saveexec_b64 s[48:49], vcc
	s_cbranch_execz .LBB2_465
; %bb.456:                              ;   in Loop: Header=BB2_450 Depth=3
	s_mov_b64 s[50:51], 0
	v_mov_b32_e32 v2, 0
                                        ; implicit-def: $sgpr52_sgpr53
	s_branch .LBB2_460
.LBB2_457:                              ;   in Loop: Header=BB2_460 Depth=4
	s_or_b64 exec, exec, s[60:61]
	v_mov_b32_e32 v3, 0
	s_orn2_b64 s[58:59], s[58:59], exec
.LBB2_458:                              ;   in Loop: Header=BB2_460 Depth=4
	s_or_b64 exec, exec, s[56:57]
	s_andn2_b64 vcc, s[52:53], exec
	s_and_b64 s[52:53], s[58:59], exec
	s_or_b64 s[52:53], vcc, s[52:53]
	v_mov_b32_e32 v2, v3
.LBB2_459:                              ;   in Loop: Header=BB2_460 Depth=4
	s_or_b64 exec, exec, s[54:55]
	s_waitcnt vmcnt(0) lgkmcnt(0)
	v_cmp_ge_u64_e32 vcc, v[26:27], v[8:9]
	s_xor_b64 s[54:55], s[52:53], -1
	s_or_b64 vcc, s[54:55], vcc
	s_and_b64 vcc, exec, vcc
	s_or_b64 s[50:51], vcc, s[50:51]
	s_andn2_b64 exec, exec, s[50:51]
	s_cbranch_execz .LBB2_464
.LBB2_460:                              ;   Parent Loop BB2_53 Depth=1
                                        ;     Parent Loop BB2_92 Depth=2
                                        ;       Parent Loop BB2_450 Depth=3
                                        ; =>      This Inner Loop Header: Depth=4
	s_sleep 1
	flat_load_dwordx2 v[26:27], v[18:19] glc
	v_and_b32_e32 v3, 64, v55
	v_cmp_eq_u32_e32 vcc, 0, v3
	s_andn2_b64 s[52:53], s[52:53], exec
	s_and_saveexec_b64 s[54:55], vcc
	s_cbranch_execz .LBB2_459
; %bb.461:                              ;   in Loop: Header=BB2_460 Depth=4
	v_add_u32_e32 v3, 1, v2
	v_cmp_lt_i32_e32 vcc, s71, v2
	s_mov_b64 s[58:59], -1
	s_and_saveexec_b64 s[56:57], vcc
	s_cbranch_execz .LBB2_458
; %bb.462:                              ;   in Loop: Header=BB2_460 Depth=4
	s_trap 2
	ds_read_b64 v[2:3], v0
	s_waitcnt vmcnt(0) lgkmcnt(0)
	flat_load_dword v2, v[2:3] glc
	s_waitcnt vmcnt(0) lgkmcnt(0)
	buffer_invl2
	buffer_wbinvl1_vol
	v_cmp_ne_u32_e32 vcc, 0, v2
	s_and_saveexec_b64 s[60:61], vcc
	s_cbranch_execz .LBB2_457
; %bb.463:                              ;   in Loop: Header=BB2_460 Depth=4
	v_or_b32_e32 v55, 64, v55
	s_xor_b64 s[58:59], exec, -1
	ds_write_b32 v0, v2
	s_trap 2
	s_branch .LBB2_457
.LBB2_464:                              ;   in Loop: Header=BB2_450 Depth=3
	s_or_b64 exec, exec, s[50:51]
	v_and_b32_e32 v2, 4, v55
.LBB2_465:                              ;   in Loop: Header=BB2_450 Depth=3
	s_or_b64 exec, exec, s[48:49]
	v_cmp_eq_u32_e32 vcc, 0, v2
	s_orn2_b64 s[48:49], vcc, exec
	;;#ASMSTART
	s_wakeup
	;;#ASMEND
	s_or_b64 exec, exec, s[22:23]
	s_xor_b64 s[22:23], s[48:49], -1
	s_and_saveexec_b64 s[48:49], s[22:23]
	s_cbranch_execz .LBB2_454
.LBB2_466:                              ;   in Loop: Header=BB2_450 Depth=3
	v_and_b32_e32 v2, 0x100, v55
	v_cmp_ne_u32_e32 vcc, 0, v2
	v_and_b32_e32 v12, 7, v16
	s_mov_b64 s[22:23], -1
                                        ; implicit-def: $vgpr2_vgpr3
	s_and_saveexec_b64 s[50:51], vcc
	s_cbranch_execz .LBB2_470
; %bb.467:                              ;   in Loop: Header=BB2_450 Depth=3
	v_mad_u64_u32 v[8:9], s[22:23], v12, 24, v[4:5]
	flat_load_dword v2, v[8:9]
	s_waitcnt vmcnt(0) lgkmcnt(0)
	v_cmp_ne_u32_e32 vcc, 1, v2
	v_cmp_eq_u32_e64 s[22:23], 1, v2
                                        ; implicit-def: $vgpr2_vgpr3
	s_and_saveexec_b64 s[52:53], s[22:23]
	s_cbranch_execz .LBB2_469
; %bb.468:                              ;   in Loop: Header=BB2_450 Depth=3
	flat_load_dword v2, v[8:9] offset:4 glc
	s_waitcnt vmcnt(0) lgkmcnt(0)
	v_ashrrev_i32_e32 v3, 31, v2
.LBB2_469:                              ;   in Loop: Header=BB2_450 Depth=3
	s_or_b64 exec, exec, s[52:53]
	s_orn2_b64 s[22:23], vcc, exec
.LBB2_470:                              ;   in Loop: Header=BB2_450 Depth=3
	s_or_b64 exec, exec, s[50:51]
	s_and_saveexec_b64 vcc, s[22:23]
; %bb.471:                              ;   in Loop: Header=BB2_450 Depth=3
	v_mad_i64_i32 v[2:3], s[22:23], v12, v20, 0
; %bb.472:                              ;   in Loop: Header=BB2_450 Depth=3
	s_or_b64 exec, exec, vcc
	v_add_co_u32_e32 v2, vcc, v22, v2
	v_addc_co_u32_e32 v3, vcc, v23, v3, vcc
	ds_write_b64 v0, v[2:3] offset:720
	v_and_b32_e32 v2, 0x2000, v55
	v_cmp_ne_u32_e32 vcc, 0, v2
	s_and_saveexec_b64 s[22:23], vcc
	s_cbranch_execz .LBB2_474
; %bb.473:                              ;   in Loop: Header=BB2_450 Depth=3
	ds_read_b64 v[2:3], v0 offset:584
	s_waitcnt lgkmcnt(0)
	v_add_co_u32_e32 v2, vcc, 1, v2
	v_addc_co_u32_e32 v3, vcc, 0, v3, vcc
	ds_write_b64 v0, v[2:3] offset:584
.LBB2_474:                              ;   in Loop: Header=BB2_450 Depth=3
	s_or_b64 exec, exec, s[22:23]
	v_add_co_u32_e32 v16, vcc, 2, v16
	v_addc_co_u32_e32 v17, vcc, 0, v17, vcc
	s_or_b64 exec, exec, s[48:49]
	s_and_saveexec_b64 s[22:23], s[6:7]
	s_cbranch_execz .LBB2_493
.LBB2_475:                              ;   in Loop: Header=BB2_450 Depth=3
	s_and_saveexec_b64 vcc, s[28:29]
	s_xor_b64 s[48:49], exec, vcc
	s_cbranch_execz .LBB2_490
; %bb.476:                              ;   in Loop: Header=BB2_450 Depth=3
	s_and_saveexec_b64 s[50:51], s[12:13]
	s_cbranch_execz .LBB2_489
; %bb.477:                              ;   in Loop: Header=BB2_450 Depth=3
	s_mov_b64 s[54:55], exec
	v_mbcnt_lo_u32_b32 v2, s54, 0
	v_mbcnt_hi_u32_b32 v2, s55, v2
	v_cmp_eq_u32_e32 vcc, 0, v2
	s_waitcnt vmcnt(0) lgkmcnt(0)
	buffer_wbinvl1_vol
	s_and_saveexec_b64 s[52:53], vcc
	s_cbranch_execz .LBB2_479
; %bb.478:                              ;   in Loop: Header=BB2_450 Depth=3
	s_bcnt1_i32_b64 vcc_lo, s[54:55]
	v_mov_b32_e32 v2, vcc_lo
	v_mov_b32_e32 v3, v36
	ds_add_u64 v0, v[2:3]
	s_trap 2
.LBB2_479:                              ;   in Loop: Header=BB2_450 Depth=3
	s_or_b64 exec, exec, s[52:53]
	s_trap 2
	ds_read_b64 v[2:3], v0
	v_add_co_u32_e32 v10, vcc, v10, v30
	v_addc_co_u32_e32 v11, vcc, 0, v11, vcc
	s_waitcnt lgkmcnt(0)
	v_cmp_lt_u64_e32 vcc, v[2:3], v[10:11]
	s_and_saveexec_b64 s[52:53], vcc
	s_cbranch_execz .LBB2_488
; %bb.480:                              ;   in Loop: Header=BB2_450 Depth=3
	s_mov_b32 s65, 0
	s_mov_b64 s[54:55], 0
                                        ; implicit-def: $sgpr56_sgpr57
                                        ; implicit-def: $sgpr58_sgpr59
	s_branch .LBB2_482
.LBB2_481:                              ;   in Loop: Header=BB2_482 Depth=4
	s_or_b64 exec, exec, s[62:63]
	s_and_b64 vcc, exec, vcc
	s_or_b64 s[54:55], vcc, s[54:55]
	s_andn2_b64 vcc, s[56:57], exec
	s_and_b64 s[56:57], s[58:59], exec
	s_or_b64 s[56:57], vcc, s[56:57]
	s_andn2_b64 exec, exec, s[54:55]
	s_cbranch_execz .LBB2_486
.LBB2_482:                              ;   Parent Loop BB2_53 Depth=1
                                        ;     Parent Loop BB2_92 Depth=2
                                        ;       Parent Loop BB2_450 Depth=3
                                        ; =>      This Inner Loop Header: Depth=4
	s_add_i32 s65, s65, 1
	s_cmpk_lg_i32 s65, 0x2710
	s_cselect_b64 s[60:61], -1, 0
	s_and_b64 vcc, exec, s[60:61]
                                        ; implicit-def: $sgpr62_sgpr63
	s_cbranch_vccnz .LBB2_484
; %bb.483:                              ;   in Loop: Header=BB2_482 Depth=4
	s_trap 2
	ds_read_b64 v[2:3], v0
	s_andn2_b64 s[60:61], s[60:61], exec
	s_mov_b32 s65, 0
	s_mov_b64 s[62:63], -1
	s_waitcnt lgkmcnt(0)
	flat_load_dword v2, v[2:3] glc
	s_waitcnt vmcnt(0) lgkmcnt(0)
	buffer_invl2
	buffer_wbinvl1_vol
	v_cmp_eq_u32_e32 vcc, 0, v2
	s_and_b64 vcc, vcc, exec
	s_or_b64 s[60:61], s[60:61], vcc
.LBB2_484:                              ;   in Loop: Header=BB2_482 Depth=4
	s_andn2_b64 s[58:59], s[58:59], exec
	s_and_b64 s[62:63], s[62:63], exec
	s_mov_b64 vcc, -1
	s_or_b64 s[58:59], s[58:59], s[62:63]
	s_and_saveexec_b64 s[62:63], s[60:61]
	s_cbranch_execz .LBB2_481
; %bb.485:                              ;   in Loop: Header=BB2_482 Depth=4
	s_sleep 1
	s_trap 2
	ds_read_b64 v[2:3], v0
	s_andn2_b64 s[58:59], s[58:59], exec
	s_waitcnt lgkmcnt(0)
	v_cmp_ge_u64_e32 vcc, v[2:3], v[10:11]
	s_orn2_b64 vcc, vcc, exec
	s_branch .LBB2_481
.LBB2_486:                              ;   in Loop: Header=BB2_450 Depth=3
	s_or_b64 exec, exec, s[54:55]
	s_and_saveexec_b64 vcc, s[56:57]
	s_xor_b64 vcc, exec, vcc
	s_cbranch_execz .LBB2_488
; %bb.487:                              ;   in Loop: Header=BB2_450 Depth=3
	ds_write_b32 v0, v56
	s_trap 2
.LBB2_488:                              ;   in Loop: Header=BB2_450 Depth=3
	s_or_b64 exec, exec, s[52:53]
	;;#ASMSTART
	s_wakeup
	;;#ASMEND
.LBB2_489:                              ;   in Loop: Header=BB2_450 Depth=3
	s_or_b64 exec, exec, s[50:51]
.LBB2_490:                              ;   in Loop: Header=BB2_450 Depth=3
	s_andn2_saveexec_b64 vcc, s[48:49]
	s_cbranch_execz .LBB2_492
; %bb.491:                              ;   in Loop: Header=BB2_450 Depth=3
	s_waitcnt vmcnt(0) lgkmcnt(0)
	buffer_wbinvl1_vol
	s_barrier
.LBB2_492:                              ;   in Loop: Header=BB2_450 Depth=3
	s_or_b64 exec, exec, vcc
.LBB2_493:                              ;   in Loop: Header=BB2_450 Depth=3
	s_or_b64 exec, exec, s[22:23]
	s_trap 2
	ds_read_b32 v2, v0
	v_and_b32_e32 v3, 0x4000, v55
	v_cmp_ne_u32_e32 vcc, 0, v3
	s_xor_b64 s[22:23], s[14:15], -1
	s_and_b64 vcc, s[22:23], vcc
	s_and_saveexec_b64 s[22:23], vcc
	s_cbranch_execz .LBB2_512
; %bb.494:                              ;   in Loop: Header=BB2_450 Depth=3
	s_and_saveexec_b64 vcc, s[28:29]
	s_xor_b64 s[48:49], exec, vcc
	s_cbranch_execz .LBB2_509
; %bb.495:                              ;   in Loop: Header=BB2_450 Depth=3
	s_and_saveexec_b64 s[50:51], s[12:13]
	s_cbranch_execz .LBB2_508
; %bb.496:                              ;   in Loop: Header=BB2_450 Depth=3
	s_mov_b64 s[54:55], exec
	v_mbcnt_lo_u32_b32 v3, s54, 0
	v_mbcnt_hi_u32_b32 v3, s55, v3
	v_cmp_eq_u32_e32 vcc, 0, v3
	s_waitcnt vmcnt(0) lgkmcnt(0)
	buffer_wbinvl1_vol
	s_and_saveexec_b64 s[52:53], vcc
	s_cbranch_execz .LBB2_498
; %bb.497:                              ;   in Loop: Header=BB2_450 Depth=3
	s_bcnt1_i32_b64 vcc_lo, s[54:55]
	v_mov_b32_e32 v8, vcc_lo
	v_mov_b32_e32 v9, v36
	ds_add_u64 v0, v[8:9]
	s_trap 2
.LBB2_498:                              ;   in Loop: Header=BB2_450 Depth=3
	s_or_b64 exec, exec, s[52:53]
	s_trap 2
	ds_read_b64 v[8:9], v0
	v_add_co_u32_e32 v10, vcc, v10, v30
	v_addc_co_u32_e32 v11, vcc, 0, v11, vcc
	s_waitcnt lgkmcnt(0)
	v_cmp_lt_u64_e32 vcc, v[8:9], v[10:11]
	s_and_saveexec_b64 s[52:53], vcc
	s_cbranch_execz .LBB2_507
; %bb.499:                              ;   in Loop: Header=BB2_450 Depth=3
	s_mov_b32 s65, 0
	s_mov_b64 s[54:55], 0
                                        ; implicit-def: $sgpr56_sgpr57
                                        ; implicit-def: $sgpr58_sgpr59
	s_branch .LBB2_501
.LBB2_500:                              ;   in Loop: Header=BB2_501 Depth=4
	s_or_b64 exec, exec, s[62:63]
	s_and_b64 vcc, exec, vcc
	s_or_b64 s[54:55], vcc, s[54:55]
	s_andn2_b64 vcc, s[56:57], exec
	s_and_b64 s[56:57], s[58:59], exec
	s_or_b64 s[56:57], vcc, s[56:57]
	s_andn2_b64 exec, exec, s[54:55]
	s_cbranch_execz .LBB2_505
.LBB2_501:                              ;   Parent Loop BB2_53 Depth=1
                                        ;     Parent Loop BB2_92 Depth=2
                                        ;       Parent Loop BB2_450 Depth=3
                                        ; =>      This Inner Loop Header: Depth=4
	s_add_i32 s65, s65, 1
	s_cmpk_lg_i32 s65, 0x2710
	s_cselect_b64 s[60:61], -1, 0
	s_and_b64 vcc, exec, s[60:61]
                                        ; implicit-def: $sgpr62_sgpr63
	s_cbranch_vccnz .LBB2_503
; %bb.502:                              ;   in Loop: Header=BB2_501 Depth=4
	s_trap 2
	ds_read_b64 v[8:9], v0
	s_andn2_b64 s[60:61], s[60:61], exec
	s_mov_b32 s65, 0
	s_mov_b64 s[62:63], -1
	s_waitcnt lgkmcnt(0)
	flat_load_dword v3, v[8:9] glc
	s_waitcnt vmcnt(0) lgkmcnt(0)
	buffer_invl2
	buffer_wbinvl1_vol
	v_cmp_eq_u32_e32 vcc, 0, v3
	s_and_b64 vcc, vcc, exec
	s_or_b64 s[60:61], s[60:61], vcc
.LBB2_503:                              ;   in Loop: Header=BB2_501 Depth=4
	s_andn2_b64 s[58:59], s[58:59], exec
	s_and_b64 s[62:63], s[62:63], exec
	s_mov_b64 vcc, -1
	s_or_b64 s[58:59], s[58:59], s[62:63]
	s_and_saveexec_b64 s[62:63], s[60:61]
	s_cbranch_execz .LBB2_500
; %bb.504:                              ;   in Loop: Header=BB2_501 Depth=4
	s_sleep 1
	s_trap 2
	ds_read_b64 v[8:9], v0
	s_andn2_b64 s[58:59], s[58:59], exec
	s_waitcnt lgkmcnt(0)
	v_cmp_ge_u64_e32 vcc, v[8:9], v[10:11]
	s_orn2_b64 vcc, vcc, exec
	s_branch .LBB2_500
.LBB2_505:                              ;   in Loop: Header=BB2_450 Depth=3
	s_or_b64 exec, exec, s[54:55]
	s_and_saveexec_b64 vcc, s[56:57]
	s_xor_b64 vcc, exec, vcc
	s_cbranch_execz .LBB2_507
; %bb.506:                              ;   in Loop: Header=BB2_450 Depth=3
	ds_write_b32 v0, v56
	s_trap 2
.LBB2_507:                              ;   in Loop: Header=BB2_450 Depth=3
	s_or_b64 exec, exec, s[52:53]
	;;#ASMSTART
	s_wakeup
	;;#ASMEND
.LBB2_508:                              ;   in Loop: Header=BB2_450 Depth=3
	s_or_b64 exec, exec, s[50:51]
.LBB2_509:                              ;   in Loop: Header=BB2_450 Depth=3
	s_andn2_saveexec_b64 vcc, s[48:49]
	s_cbranch_execz .LBB2_511
; %bb.510:                              ;   in Loop: Header=BB2_450 Depth=3
	s_waitcnt vmcnt(0) lgkmcnt(0)
	buffer_wbinvl1_vol
	s_barrier
.LBB2_511:                              ;   in Loop: Header=BB2_450 Depth=3
	s_or_b64 exec, exec, vcc
.LBB2_512:                              ;   in Loop: Header=BB2_450 Depth=3
	s_or_b64 exec, exec, s[22:23]
	s_trap 2
	ds_read_b64 v[8:9], v0
	v_sub_u32_e32 v3, v14, v32
	v_min_i32_e32 v15, v15, v3
	v_mov_b32_e32 v38, 0
	s_waitcnt lgkmcnt(0)
	v_readfirstlane_b32 s22, v8
	v_readfirstlane_b32 s23, v9
	s_cmp_eq_u64 s[22:23], 0
	s_cselect_b64 s[22:23], -1, 0
	s_or_b64 s[22:23], s[22:23], s[22:23]
	s_and_b64 vcc, exec, s[22:23]
	s_cbranch_vccnz .LBB2_542
; %bb.513:                              ;   in Loop: Header=BB2_450 Depth=3
	s_mov_b64 s[22:23], -1
	s_and_saveexec_b64 s[48:49], s[16:17]
	s_cbranch_execz .LBB2_515
; %bb.514:                              ;   in Loop: Header=BB2_450 Depth=3
	ds_read_b32 v3, v0 offset:720
	s_waitcnt lgkmcnt(0)
	v_and_b32_e32 v3, 15, v3
	v_cmp_eq_u32_e32 vcc, 0, v3
	s_orn2_b64 s[22:23], vcc, exec
.LBB2_515:                              ;   in Loop: Header=BB2_450 Depth=3
	s_or_b64 exec, exec, s[48:49]
	s_and_saveexec_b64 s[48:49], s[10:11]
	s_cbranch_execz .LBB2_517
; %bb.516:                              ;   in Loop: Header=BB2_450 Depth=3
	ds_read_b32 v3, v0 offset:784
	s_waitcnt lgkmcnt(0)
	v_and_b32_e32 v3, 15, v3
	v_cmp_eq_u32_e32 vcc, 0, v3
	s_and_b64 vcc, s[22:23], vcc
	s_andn2_b64 s[22:23], s[22:23], exec
	s_and_b64 vcc, vcc, exec
	s_or_b64 s[22:23], s[22:23], vcc
.LBB2_517:                              ;   in Loop: Header=BB2_450 Depth=3
	s_or_b64 exec, exec, s[48:49]
	v_cmp_eq_u32_e32 vcc, 0, v2
	s_xor_b64 s[22:23], s[22:23], -1
	v_cndmask_b32_e32 v38, 0, v15, vcc
	v_cndmask_b32_e64 v2, 0, 1, s[22:23]
	v_mov_b32_e32 v39, 0
	s_mov_b64 s[50:51], -1
	;;#ASMSTART
	;;#ASMEND
	v_cmp_ne_u32_e32 vcc, 0, v2
	v_mov_b32_e32 v40, v38
	v_mov_b32_e32 v41, v0
	;; [unrolled: 1-line block ×3, first 2 shown]
	s_cbranch_vccz .LBB2_519
; %bb.518:                              ;   in Loop: Header=BB2_450 Depth=3
	s_and_saveexec_b64 s[22:23], s[50:51]
	s_cbranch_execnz .LBB2_532
	s_branch .LBB2_541
.LBB2_519:                              ;   in Loop: Header=BB2_450 Depth=3
	v_ashrrev_i32_e32 v2, 31, v38
	v_lshrrev_b32_e32 v2, 22, v2
	v_add_u32_e32 v2, v38, v2
	v_and_b32_e32 v12, 0xfffffc00, v2
	v_sub_u32_e32 v43, v38, v12
	v_ashrrev_i32_e32 v3, 10, v2
	v_cmp_lt_i32_e32 vcc, 15, v43
	v_sub_u32_e32 v13, v38, v44
	v_addc_co_u32_e64 v42, s[22:23], v3, v47, vcc
	v_cmp_lt_i32_e64 s[22:23], 15, v13
	s_and_saveexec_b64 s[48:49], s[22:23]
	s_cbranch_execz .LBB2_523
; %bb.520:                              ;   in Loop: Header=BB2_450 Depth=3
	s_trap 2
	ds_read_b64 v[2:3], v0
	s_mov_b64 s[50:51], 0
	v_pk_mov_b32 v[8:9], v[44:45], v[44:45] op_sel:[0,1]
.LBB2_521:                              ;   Parent Loop BB2_53 Depth=1
                                        ;     Parent Loop BB2_92 Depth=2
                                        ;       Parent Loop BB2_450 Depth=3
                                        ; =>      This Inner Loop Header: Depth=4
	s_waitcnt lgkmcnt(0)
	v_add_co_u32_e64 v48, s[22:23], v2, v8
	v_addc_co_u32_e64 v49, s[22:23], v3, v9, s[22:23]
	global_load_dwordx4 v[58:61], v[48:49], off glc slc
	v_add_co_u32_e64 v8, s[22:23], v8, v29
	v_sub_u32_e32 v13, v13, v52
	v_addc_co_u32_e64 v9, s[22:23], v9, v62, s[22:23]
	v_cmp_gt_i32_e64 s[22:23], 16, v13
	v_sub_u32_e32 v42, v42, v30
	s_or_b64 s[50:51], s[22:23], s[50:51]
	s_waitcnt vmcnt(0)
	global_store_dwordx4 v[48:49], v[58:61], off glc slc
	s_andn2_b64 exec, exec, s[50:51]
	s_cbranch_execnz .LBB2_521
; %bb.522:                              ;   in Loop: Header=BB2_450 Depth=3
	s_or_b64 exec, exec, s[50:51]
	v_accvgpr_read_b32 v61, a7
.LBB2_523:                              ;   in Loop: Header=BB2_450 Depth=3
	s_or_b64 exec, exec, s[48:49]
	v_and_b32_e32 v2, 15, v38
	v_cndmask_b32_e32 v13, v43, v2, vcc
	v_cmp_ne_u32_e64 s[22:23], 0, v13
	s_mov_b64 s[50:51], 0
	v_mov_b32_e32 v39, 0
                                        ; implicit-def: $vgpr40
                                        ; implicit-def: $vgpr41
                                        ; implicit-def: $vgpr8
	s_and_saveexec_b64 s[48:49], s[22:23]
	s_cbranch_execz .LBB2_531
; %bb.524:                              ;   in Loop: Header=BB2_450 Depth=3
	v_sub_u32_e32 v2, v43, v2
	v_cndmask_b32_e32 v2, 0, v2, vcc
	v_cmp_lt_i32_e32 vcc, 0, v42
	v_add_u32_e32 v12, v2, v12
	v_cndmask_b32_e32 v2, 0, v30, vcc
	v_sub_u32_e32 v2, v2, v42
	v_lshl_add_u32 v2, v2, 6, v61
	v_ashrrev_i32_e32 v3, 31, v2
	v_lshrrev_b32_e32 v3, 26, v3
	v_add_u32_e32 v3, v2, v3
	v_ashrrev_i32_e32 v9, 6, v3
	v_and_b32_e32 v3, 0xffffffc0, v3
	v_sub_u32_e32 v42, v2, v3
	v_lshlrev_b32_e32 v2, 4, v42
	v_lshl_add_u32 v8, v9, 10, v2
	v_ashrrev_i32_e32 v2, 31, v13
	v_lshrrev_b32_e32 v2, 22, v2
	v_add_u32_e32 v2, v13, v2
	v_and_b32_e32 v43, 0xfffffc00, v2
	v_sub_u32_e32 v59, v13, v43
	v_ashrrev_i32_e32 v3, 10, v2
	v_cmp_lt_i32_e32 vcc, 15, v59
	v_sub_u32_e32 v39, v13, v8
	v_addc_co_u32_e64 v2, s[22:23], 0, v3, vcc
	v_sub_u32_e32 v46, v2, v9
	v_cmp_lt_i32_e64 s[22:23], 15, v39
	s_and_saveexec_b64 s[50:51], s[22:23]
	s_cbranch_execz .LBB2_528
; %bb.525:                              ;   in Loop: Header=BB2_450 Depth=3
	s_trap 2
	ds_read_b64 v[2:3], v0
	v_add_u32_e32 v8, v8, v12
	v_ashrrev_i32_e32 v9, 31, v8
	s_mov_b64 s[52:53], 0
.LBB2_526:                              ;   Parent Loop BB2_53 Depth=1
                                        ;     Parent Loop BB2_92 Depth=2
                                        ;       Parent Loop BB2_450 Depth=3
                                        ; =>      This Inner Loop Header: Depth=4
	s_waitcnt lgkmcnt(0)
	v_add_co_u32_e64 v40, s[22:23], v2, v8
	v_addc_co_u32_e64 v41, s[22:23], v3, v9, s[22:23]
	global_load_dwordx4 v[48:51], v[40:41], off glc slc
	v_add_co_u32_e64 v8, s[22:23], v8, v29
	v_sub_u32_e32 v39, v39, v52
	v_addc_co_u32_e64 v9, s[22:23], v9, v62, s[22:23]
	v_cmp_gt_i32_e64 s[22:23], 16, v39
	v_sub_u32_e32 v46, v46, v30
	s_or_b64 s[52:53], s[22:23], s[52:53]
	s_waitcnt vmcnt(0)
	global_store_dwordx4 v[40:41], v[48:51], off glc slc
	s_andn2_b64 exec, exec, s[52:53]
	s_cbranch_execnz .LBB2_526
; %bb.527:                              ;   in Loop: Header=BB2_450 Depth=3
	s_or_b64 exec, exec, s[52:53]
.LBB2_528:                              ;   in Loop: Header=BB2_450 Depth=3
	s_or_b64 exec, exec, s[50:51]
	v_and_b32_e32 v2, 15, v13
	v_cndmask_b32_e32 v40, v59, v2, vcc
	v_cmp_ne_u32_e64 s[22:23], 0, v40
	s_mov_b64 s[50:51], 0
	v_mov_b32_e32 v39, 0
                                        ; implicit-def: $vgpr41
                                        ; implicit-def: $vgpr8
	s_and_saveexec_b64 s[52:53], s[22:23]
	s_cbranch_execz .LBB2_530
; %bb.529:                              ;   in Loop: Header=BB2_450 Depth=3
	v_sub_u32_e32 v2, v59, v2
	v_cndmask_b32_e32 v2, 0, v2, vcc
	v_cmp_lt_i32_e32 vcc, 0, v46
	v_add3_u32 v39, v43, v12, v2
	v_cndmask_b32_e32 v2, 0, v30, vcc
	v_sub_u32_e32 v2, v2, v46
	v_lshl_add_u32 v41, v2, 6, v42
	v_ashrrev_i32_e32 v2, 31, v41
	v_lshrrev_b32_e32 v2, 26, v2
	v_add_u32_e32 v2, v41, v2
	s_mov_b64 s[50:51], exec
	v_ashrrev_i32_e32 v8, 6, v2
.LBB2_530:                              ;   in Loop: Header=BB2_450 Depth=3
	s_or_b64 exec, exec, s[52:53]
	s_and_b64 s[50:51], s[50:51], exec
.LBB2_531:                              ;   in Loop: Header=BB2_450 Depth=3
	s_or_b64 exec, exec, s[48:49]
	s_and_saveexec_b64 s[22:23], s[50:51]
	s_cbranch_execz .LBB2_541
.LBB2_532:                              ;   in Loop: Header=BB2_450 Depth=3
	v_ashrrev_i32_e32 v2, 31, v40
	v_lshrrev_b32_e32 v2, 23, v2
	v_add_u32_e32 v2, v40, v2
	v_ashrrev_i32_e32 v46, 9, v2
	v_sub_u32_e32 v42, v46, v8
	v_ashrrev_i32_e32 v2, 31, v41
	v_cmp_lt_i32_e32 vcc, 0, v42
	v_lshrrev_b32_e32 v43, 26, v2
	s_and_saveexec_b64 s[48:49], vcc
	s_cbranch_execz .LBB2_536
; %bb.533:                              ;   in Loop: Header=BB2_450 Depth=3
	s_trap 2
	ds_read_b64 v[2:3], v0
	v_add_u32_e32 v9, v41, v43
	v_and_b32_e32 v9, 0xffffffc0, v9
	v_sub_u32_e32 v9, v41, v9
	v_lshlrev_b32_e32 v8, 9, v8
	v_add3_u32 v8, v39, v9, v8
	v_ashrrev_i32_e32 v9, 31, v8
	s_mov_b64 s[50:51], 0
	s_waitcnt lgkmcnt(0)
	v_pk_mov_b32 v[12:13], v[2:3], v[2:3] op_sel:[0,1]
.LBB2_534:                              ;   Parent Loop BB2_53 Depth=1
                                        ;     Parent Loop BB2_92 Depth=2
                                        ;       Parent Loop BB2_450 Depth=3
                                        ; =>      This Inner Loop Header: Depth=4
	v_add_co_u32_e32 v48, vcc, v8, v12
	v_addc_co_u32_e32 v49, vcc, v9, v13, vcc
	flat_load_ubyte v50, v[48:49] glc slc
	flat_load_ubyte v51, v[48:49] offset:64 glc slc
	flat_load_ubyte v57, v[48:49] offset:128 glc slc
	;; [unrolled: 1-line block ×7, first 2 shown]
	v_add_co_u32_e32 v48, vcc, v8, v2
	v_addc_co_u32_e32 v49, vcc, v9, v3, vcc
	v_add_co_u32_e32 v12, vcc, v12, v31
	v_addc_co_u32_e32 v13, vcc, v13, v1, vcc
	v_add_co_u32_e32 v2, vcc, v2, v31
	v_sub_u32_e32 v42, v42, v30
	v_addc_co_u32_e32 v3, vcc, v3, v1, vcc
	v_cmp_gt_i32_e32 vcc, 1, v42
	s_or_b64 s[50:51], vcc, s[50:51]
	s_waitcnt vmcnt(0) lgkmcnt(0)
	flat_store_byte v[48:49], v50 glc slc
	flat_store_byte v[48:49], v51 offset:64 glc slc
	flat_store_byte v[48:49], v57 offset:128 glc slc
	;; [unrolled: 1-line block ×7, first 2 shown]
	s_andn2_b64 exec, exec, s[50:51]
	s_cbranch_execnz .LBB2_534
; %bb.535:                              ;   in Loop: Header=BB2_450 Depth=3
	s_or_b64 exec, exec, s[50:51]
	v_accvgpr_read_b32 v61, a7
.LBB2_536:                              ;   in Loop: Header=BB2_450 Depth=3
	s_or_b64 exec, exec, s[48:49]
	v_lshlrev_b32_e32 v2, 9, v46
	v_cmp_ne_u32_e32 vcc, v40, v2
	s_and_saveexec_b64 s[48:49], vcc
	s_cbranch_execz .LBB2_540
; %bb.537:                              ;   in Loop: Header=BB2_450 Depth=3
	v_add_u32_e32 v3, v41, v43
	v_and_b32_e32 v3, 0xffffffc0, v3
	v_sub_u32_e32 v3, v41, v3
	v_lshlrev_b32_e32 v8, 6, v42
	v_sub_u32_e32 v3, v3, v8
	v_add_u32_e32 v8, v2, v3
	v_sub_u32_e32 v12, v40, v8
	v_cmp_lt_i32_e32 vcc, 0, v12
	s_and_b64 exec, exec, vcc
	s_cbranch_execz .LBB2_540
; %bb.538:                              ;   in Loop: Header=BB2_450 Depth=3
	s_trap 2
	ds_read_b64 v[2:3], v0
	v_add_u32_e32 v8, v8, v39
	v_ashrrev_i32_e32 v9, 31, v8
	s_mov_b64 s[50:51], 0
.LBB2_539:                              ;   Parent Loop BB2_53 Depth=1
                                        ;     Parent Loop BB2_92 Depth=2
                                        ;       Parent Loop BB2_450 Depth=3
                                        ; =>      This Inner Loop Header: Depth=4
	s_waitcnt lgkmcnt(0)
	v_add_co_u32_e32 v48, vcc, v2, v8
	v_addc_co_u32_e32 v49, vcc, v3, v9, vcc
	flat_load_ubyte v13, v[48:49] glc slc
	v_add_co_u32_e32 v8, vcc, v8, v54
	v_sub_u32_e32 v12, v12, v54
	v_addc_co_u32_e32 v9, vcc, v9, v21, vcc
	v_cmp_gt_i32_e32 vcc, 1, v12
	s_or_b64 s[50:51], vcc, s[50:51]
	s_waitcnt vmcnt(0) lgkmcnt(0)
	flat_store_byte v[48:49], v13 glc slc
	s_andn2_b64 exec, exec, s[50:51]
	s_cbranch_execnz .LBB2_539
.LBB2_540:                              ;   in Loop: Header=BB2_450 Depth=3
	s_or_b64 exec, exec, s[48:49]
.LBB2_541:                              ;   in Loop: Header=BB2_450 Depth=3
	s_or_b64 exec, exec, s[22:23]
.LBB2_542:                              ;   in Loop: Header=BB2_450 Depth=3
	s_and_saveexec_b64 s[22:23], s[6:7]
	s_cbranch_execz .LBB2_561
; %bb.543:                              ;   in Loop: Header=BB2_450 Depth=3
	s_and_saveexec_b64 vcc, s[28:29]
	s_xor_b64 s[48:49], exec, vcc
	s_cbranch_execz .LBB2_558
; %bb.544:                              ;   in Loop: Header=BB2_450 Depth=3
	s_and_saveexec_b64 s[50:51], s[12:13]
	s_cbranch_execz .LBB2_557
; %bb.545:                              ;   in Loop: Header=BB2_450 Depth=3
	s_mov_b64 s[54:55], exec
	v_mbcnt_lo_u32_b32 v2, s54, 0
	v_mbcnt_hi_u32_b32 v2, s55, v2
	v_cmp_eq_u32_e32 vcc, 0, v2
	s_waitcnt vmcnt(0) lgkmcnt(0)
	buffer_wbinvl1_vol
	s_and_saveexec_b64 s[52:53], vcc
	s_cbranch_execz .LBB2_547
; %bb.546:                              ;   in Loop: Header=BB2_450 Depth=3
	s_bcnt1_i32_b64 vcc_lo, s[54:55]
	v_mov_b32_e32 v2, vcc_lo
	v_mov_b32_e32 v3, v36
	ds_add_u64 v0, v[2:3]
	s_trap 2
.LBB2_547:                              ;   in Loop: Header=BB2_450 Depth=3
	s_or_b64 exec, exec, s[52:53]
	s_trap 2
	ds_read_b64 v[2:3], v0
	v_add_co_u32_e32 v10, vcc, v10, v30
	v_addc_co_u32_e32 v11, vcc, 0, v11, vcc
	s_waitcnt lgkmcnt(0)
	v_cmp_lt_u64_e32 vcc, v[2:3], v[10:11]
	s_and_saveexec_b64 s[52:53], vcc
	s_cbranch_execz .LBB2_556
; %bb.548:                              ;   in Loop: Header=BB2_450 Depth=3
	s_mov_b32 s65, 0
	s_mov_b64 s[54:55], 0
                                        ; implicit-def: $sgpr56_sgpr57
                                        ; implicit-def: $sgpr58_sgpr59
	s_branch .LBB2_550
.LBB2_549:                              ;   in Loop: Header=BB2_550 Depth=4
	s_or_b64 exec, exec, s[62:63]
	s_and_b64 vcc, exec, vcc
	s_or_b64 s[54:55], vcc, s[54:55]
	s_andn2_b64 vcc, s[56:57], exec
	s_and_b64 s[56:57], s[58:59], exec
	s_or_b64 s[56:57], vcc, s[56:57]
	s_andn2_b64 exec, exec, s[54:55]
	s_cbranch_execz .LBB2_554
.LBB2_550:                              ;   Parent Loop BB2_53 Depth=1
                                        ;     Parent Loop BB2_92 Depth=2
                                        ;       Parent Loop BB2_450 Depth=3
                                        ; =>      This Inner Loop Header: Depth=4
	s_add_i32 s65, s65, 1
	s_cmpk_lg_i32 s65, 0x2710
	s_cselect_b64 s[60:61], -1, 0
	s_and_b64 vcc, exec, s[60:61]
                                        ; implicit-def: $sgpr62_sgpr63
	s_cbranch_vccnz .LBB2_552
; %bb.551:                              ;   in Loop: Header=BB2_550 Depth=4
	s_trap 2
	ds_read_b64 v[2:3], v0
	s_andn2_b64 s[60:61], s[60:61], exec
	s_mov_b32 s65, 0
	s_mov_b64 s[62:63], -1
	s_waitcnt lgkmcnt(0)
	flat_load_dword v2, v[2:3] glc
	s_waitcnt vmcnt(0) lgkmcnt(0)
	buffer_invl2
	buffer_wbinvl1_vol
	v_cmp_eq_u32_e32 vcc, 0, v2
	s_and_b64 vcc, vcc, exec
	s_or_b64 s[60:61], s[60:61], vcc
.LBB2_552:                              ;   in Loop: Header=BB2_550 Depth=4
	s_andn2_b64 s[58:59], s[58:59], exec
	s_and_b64 s[62:63], s[62:63], exec
	s_mov_b64 vcc, -1
	s_or_b64 s[58:59], s[58:59], s[62:63]
	s_and_saveexec_b64 s[62:63], s[60:61]
	s_cbranch_execz .LBB2_549
; %bb.553:                              ;   in Loop: Header=BB2_550 Depth=4
	s_sleep 1
	s_trap 2
	ds_read_b64 v[2:3], v0
	s_andn2_b64 s[58:59], s[58:59], exec
	s_waitcnt lgkmcnt(0)
	v_cmp_ge_u64_e32 vcc, v[2:3], v[10:11]
	s_orn2_b64 vcc, vcc, exec
	s_branch .LBB2_549
.LBB2_554:                              ;   in Loop: Header=BB2_450 Depth=3
	s_or_b64 exec, exec, s[54:55]
	s_and_saveexec_b64 vcc, s[56:57]
	s_xor_b64 vcc, exec, vcc
	s_cbranch_execz .LBB2_556
; %bb.555:                              ;   in Loop: Header=BB2_450 Depth=3
	ds_write_b32 v0, v56
	s_trap 2
.LBB2_556:                              ;   in Loop: Header=BB2_450 Depth=3
	s_or_b64 exec, exec, s[52:53]
	;;#ASMSTART
	s_wakeup
	;;#ASMEND
.LBB2_557:                              ;   in Loop: Header=BB2_450 Depth=3
	s_or_b64 exec, exec, s[50:51]
.LBB2_558:                              ;   in Loop: Header=BB2_450 Depth=3
	s_andn2_saveexec_b64 vcc, s[48:49]
	s_cbranch_execz .LBB2_560
; %bb.559:                              ;   in Loop: Header=BB2_450 Depth=3
	s_waitcnt vmcnt(0) lgkmcnt(0)
	buffer_wbinvl1_vol
	s_barrier
.LBB2_560:                              ;   in Loop: Header=BB2_450 Depth=3
	s_or_b64 exec, exec, vcc
.LBB2_561:                              ;   in Loop: Header=BB2_450 Depth=3
	s_or_b64 exec, exec, s[22:23]
	v_and_b32_e32 v2, 16, v55
	v_cmp_lt_i32_e32 vcc, 0, v38
	v_cmp_ne_u32_e64 s[22:23], 0, v2
	s_and_b64 vcc, s[22:23], vcc
	s_and_saveexec_b64 s[22:23], vcc
	s_cbranch_execz .LBB2_563
; %bb.562:                              ;   in Loop: Header=BB2_450 Depth=3
	s_waitcnt vmcnt(0) lgkmcnt(0)
	buffer_wbinvl1_vol
.LBB2_563:                              ;   in Loop: Header=BB2_450 Depth=3
	s_or_b64 exec, exec, s[22:23]
	v_and_b32_e32 v2, 32, v55
	v_cmp_ne_u32_e32 vcc, 0, v2
	s_and_saveexec_b64 s[22:23], vcc
	s_cbranch_execz .LBB2_449
; %bb.564:                              ;   in Loop: Header=BB2_450 Depth=3
	v_add_co_u32_e32 v16, vcc, 2, v16
	v_addc_co_u32_e32 v17, vcc, 0, v17, vcc
	flat_store_dwordx2 v[18:19], v[16:17]
	s_branch .LBB2_449
.LBB2_565:                              ;   in Loop: Header=BB2_92 Depth=2
	s_or_b64 exec, exec, s[44:45]
.LBB2_566:                              ;   in Loop: Header=BB2_92 Depth=2
	s_or_b64 exec, exec, s[42:43]
	v_cmp_gt_i32_e32 vcc, 2, v2
	s_and_saveexec_b64 s[42:43], vcc
	s_cbranch_execz .LBB2_91
; %bb.567:                              ;   in Loop: Header=BB2_92 Depth=2
	v_cmp_eq_u32_e64 s[22:23], 0, v2
	s_mov_b64 s[44:45], 0
	s_branch .LBB2_569
.LBB2_568:                              ;   in Loop: Header=BB2_569 Depth=3
	s_or_b64 exec, exec, s[22:23]
	v_add_u32_e32 v32, v15, v32
	s_mov_b64 s[22:23], 0
	s_andn2_b64 exec, exec, s[44:45]
	s_cbranch_execz .LBB2_90
.LBB2_569:                              ;   Parent Loop BB2_53 Depth=1
                                        ;     Parent Loop BB2_92 Depth=2
                                        ; =>    This Loop Header: Depth=3
                                        ;         Child Loop BB2_575 Depth 4
                                        ;         Child Loop BB2_599 Depth 4
	v_and_b32_e32 v2, 4, v55
	s_mov_b64 s[48:49], -1
	v_cmp_ne_u32_e32 vcc, 0, v2
	s_and_saveexec_b64 s[46:47], vcc
	s_cbranch_execz .LBB2_581
; %bb.570:                              ;   in Loop: Header=BB2_569 Depth=3
	v_add_co_u32_e32 v8, vcc, 2, v16
	v_addc_co_u32_e32 v9, vcc, 0, v17, vcc
	v_cmp_lt_u64_e32 vcc, v[26:27], v[8:9]
	v_mov_b32_e32 v2, 1
	s_and_saveexec_b64 s[48:49], vcc
	s_cbranch_execz .LBB2_580
; %bb.571:                              ;   in Loop: Header=BB2_569 Depth=3
	s_mov_b64 s[50:51], 0
	v_mov_b32_e32 v2, 0
                                        ; implicit-def: $sgpr52_sgpr53
	s_branch .LBB2_575
.LBB2_572:                              ;   in Loop: Header=BB2_575 Depth=4
	s_or_b64 exec, exec, s[60:61]
	v_mov_b32_e32 v3, 0
	s_orn2_b64 s[58:59], s[58:59], exec
.LBB2_573:                              ;   in Loop: Header=BB2_575 Depth=4
	s_or_b64 exec, exec, s[56:57]
	s_andn2_b64 vcc, s[52:53], exec
	s_and_b64 s[52:53], s[58:59], exec
	s_or_b64 s[52:53], vcc, s[52:53]
	v_mov_b32_e32 v2, v3
.LBB2_574:                              ;   in Loop: Header=BB2_575 Depth=4
	s_or_b64 exec, exec, s[54:55]
	s_waitcnt vmcnt(0) lgkmcnt(0)
	v_cmp_ge_u64_e32 vcc, v[26:27], v[8:9]
	s_xor_b64 s[54:55], s[52:53], -1
	s_or_b64 vcc, s[54:55], vcc
	s_and_b64 vcc, exec, vcc
	s_or_b64 s[50:51], vcc, s[50:51]
	s_andn2_b64 exec, exec, s[50:51]
	s_cbranch_execz .LBB2_579
.LBB2_575:                              ;   Parent Loop BB2_53 Depth=1
                                        ;     Parent Loop BB2_92 Depth=2
                                        ;       Parent Loop BB2_569 Depth=3
                                        ; =>      This Inner Loop Header: Depth=4
	s_sleep 1
	flat_load_dwordx2 v[26:27], v[18:19] glc
	v_and_b32_e32 v3, 64, v55
	v_cmp_eq_u32_e32 vcc, 0, v3
	s_andn2_b64 s[52:53], s[52:53], exec
	s_and_saveexec_b64 s[54:55], vcc
	s_cbranch_execz .LBB2_574
; %bb.576:                              ;   in Loop: Header=BB2_575 Depth=4
	v_add_u32_e32 v3, 1, v2
	v_cmp_lt_i32_e32 vcc, s71, v2
	s_mov_b64 s[58:59], -1
	s_and_saveexec_b64 s[56:57], vcc
	s_cbranch_execz .LBB2_573
; %bb.577:                              ;   in Loop: Header=BB2_575 Depth=4
	s_trap 2
	ds_read_b64 v[2:3], v0
	s_waitcnt vmcnt(0) lgkmcnt(0)
	flat_load_dword v2, v[2:3] glc
	s_waitcnt vmcnt(0) lgkmcnt(0)
	buffer_invl2
	buffer_wbinvl1_vol
	v_cmp_ne_u32_e32 vcc, 0, v2
	s_and_saveexec_b64 s[60:61], vcc
	s_cbranch_execz .LBB2_572
; %bb.578:                              ;   in Loop: Header=BB2_575 Depth=4
	v_or_b32_e32 v55, 64, v55
	s_xor_b64 s[58:59], exec, -1
	ds_write_b32 v0, v2
	s_trap 2
	s_branch .LBB2_572
.LBB2_579:                              ;   in Loop: Header=BB2_569 Depth=3
	s_or_b64 exec, exec, s[50:51]
	v_and_b32_e32 v2, 4, v55
.LBB2_580:                              ;   in Loop: Header=BB2_569 Depth=3
	s_or_b64 exec, exec, s[48:49]
	v_cmp_eq_u32_e32 vcc, 0, v2
	s_orn2_b64 s[48:49], vcc, exec
	;;#ASMSTART
	s_wakeup
	;;#ASMEND
.LBB2_581:                              ;   in Loop: Header=BB2_569 Depth=3
	s_or_b64 exec, exec, s[46:47]
	s_xor_b64 s[22:23], s[22:23], -1
	s_and_b64 s[22:23], exec, s[22:23]
	s_or_b64 s[44:45], s[22:23], s[44:45]
	s_xor_b64 s[22:23], s[48:49], -1
	s_and_saveexec_b64 s[46:47], s[22:23]
	s_cbranch_execz .LBB2_591
; %bb.582:                              ;   in Loop: Header=BB2_569 Depth=3
	v_and_b32_e32 v2, 0x100, v55
	v_cmp_ne_u32_e32 vcc, 0, v2
	v_and_b32_e32 v12, 7, v16
	s_mov_b64 s[22:23], -1
                                        ; implicit-def: $vgpr2_vgpr3
	s_and_saveexec_b64 s[48:49], vcc
	s_cbranch_execz .LBB2_586
; %bb.583:                              ;   in Loop: Header=BB2_569 Depth=3
	v_mad_u64_u32 v[8:9], s[22:23], v12, 24, v[4:5]
	flat_load_dword v2, v[8:9]
	s_waitcnt vmcnt(0) lgkmcnt(0)
	v_cmp_ne_u32_e32 vcc, 1, v2
	v_cmp_eq_u32_e64 s[22:23], 1, v2
                                        ; implicit-def: $vgpr2_vgpr3
	s_and_saveexec_b64 s[50:51], s[22:23]
	s_cbranch_execz .LBB2_585
; %bb.584:                              ;   in Loop: Header=BB2_569 Depth=3
	flat_load_dword v2, v[8:9] offset:4 glc
	s_waitcnt vmcnt(0) lgkmcnt(0)
	v_ashrrev_i32_e32 v3, 31, v2
.LBB2_585:                              ;   in Loop: Header=BB2_569 Depth=3
	s_or_b64 exec, exec, s[50:51]
	s_orn2_b64 s[22:23], vcc, exec
.LBB2_586:                              ;   in Loop: Header=BB2_569 Depth=3
	s_or_b64 exec, exec, s[48:49]
	s_and_saveexec_b64 vcc, s[22:23]
; %bb.587:                              ;   in Loop: Header=BB2_569 Depth=3
	v_mad_i64_i32 v[2:3], s[22:23], v12, v20, 0
; %bb.588:                              ;   in Loop: Header=BB2_569 Depth=3
	s_or_b64 exec, exec, vcc
	v_add_co_u32_e32 v2, vcc, v22, v2
	v_addc_co_u32_e32 v3, vcc, v23, v3, vcc
	ds_write_b64 v0, v[2:3] offset:720
	v_and_b32_e32 v2, 0x2000, v55
	v_cmp_ne_u32_e32 vcc, 0, v2
	s_and_saveexec_b64 s[22:23], vcc
	s_cbranch_execz .LBB2_590
; %bb.589:                              ;   in Loop: Header=BB2_569 Depth=3
	ds_read_b64 v[2:3], v0 offset:584
	s_waitcnt lgkmcnt(0)
	v_add_co_u32_e32 v2, vcc, 1, v2
	v_addc_co_u32_e32 v3, vcc, 0, v3, vcc
	ds_write_b64 v0, v[2:3] offset:584
.LBB2_590:                              ;   in Loop: Header=BB2_569 Depth=3
	s_or_b64 exec, exec, s[22:23]
	v_add_co_u32_e32 v16, vcc, 2, v16
	v_addc_co_u32_e32 v17, vcc, 0, v17, vcc
.LBB2_591:                              ;   in Loop: Header=BB2_569 Depth=3
	s_or_b64 exec, exec, s[46:47]
	s_and_saveexec_b64 s[22:23], s[6:7]
	s_cbranch_execz .LBB2_610
; %bb.592:                              ;   in Loop: Header=BB2_569 Depth=3
	s_and_saveexec_b64 vcc, s[28:29]
	s_xor_b64 s[46:47], exec, vcc
	s_cbranch_execz .LBB2_607
; %bb.593:                              ;   in Loop: Header=BB2_569 Depth=3
	s_and_saveexec_b64 s[48:49], s[12:13]
	s_cbranch_execz .LBB2_606
; %bb.594:                              ;   in Loop: Header=BB2_569 Depth=3
	s_mov_b64 s[52:53], exec
	v_mbcnt_lo_u32_b32 v2, s52, 0
	v_mbcnt_hi_u32_b32 v2, s53, v2
	v_cmp_eq_u32_e32 vcc, 0, v2
	s_waitcnt vmcnt(0) lgkmcnt(0)
	buffer_wbinvl1_vol
	s_and_saveexec_b64 s[50:51], vcc
	s_cbranch_execz .LBB2_596
; %bb.595:                              ;   in Loop: Header=BB2_569 Depth=3
	s_bcnt1_i32_b64 vcc_lo, s[52:53]
	v_mov_b32_e32 v2, vcc_lo
	v_mov_b32_e32 v3, v36
	ds_add_u64 v0, v[2:3]
	s_trap 2
.LBB2_596:                              ;   in Loop: Header=BB2_569 Depth=3
	s_or_b64 exec, exec, s[50:51]
	s_trap 2
	ds_read_b64 v[2:3], v0
	v_add_co_u32_e32 v10, vcc, v10, v30
	v_addc_co_u32_e32 v11, vcc, 0, v11, vcc
	s_waitcnt lgkmcnt(0)
	v_cmp_lt_u64_e32 vcc, v[2:3], v[10:11]
	s_and_saveexec_b64 s[50:51], vcc
	s_cbranch_execz .LBB2_605
; %bb.597:                              ;   in Loop: Header=BB2_569 Depth=3
	s_mov_b32 s62, 0
	s_mov_b64 s[52:53], 0
                                        ; implicit-def: $sgpr54_sgpr55
                                        ; implicit-def: $sgpr56_sgpr57
	s_branch .LBB2_599
.LBB2_598:                              ;   in Loop: Header=BB2_599 Depth=4
	s_or_b64 exec, exec, s[60:61]
	s_and_b64 vcc, exec, vcc
	s_or_b64 s[52:53], vcc, s[52:53]
	s_andn2_b64 vcc, s[54:55], exec
	s_and_b64 s[54:55], s[56:57], exec
	s_or_b64 s[54:55], vcc, s[54:55]
	s_andn2_b64 exec, exec, s[52:53]
	s_cbranch_execz .LBB2_603
.LBB2_599:                              ;   Parent Loop BB2_53 Depth=1
                                        ;     Parent Loop BB2_92 Depth=2
                                        ;       Parent Loop BB2_569 Depth=3
                                        ; =>      This Inner Loop Header: Depth=4
	s_add_i32 s62, s62, 1
	s_cmpk_lg_i32 s62, 0x2710
	s_cselect_b64 s[58:59], -1, 0
	s_and_b64 vcc, exec, s[58:59]
                                        ; implicit-def: $sgpr60_sgpr61
	s_cbranch_vccnz .LBB2_601
; %bb.600:                              ;   in Loop: Header=BB2_599 Depth=4
	s_trap 2
	ds_read_b64 v[2:3], v0
	s_andn2_b64 s[58:59], s[58:59], exec
	s_mov_b32 s62, 0
	s_mov_b64 s[60:61], -1
	s_waitcnt lgkmcnt(0)
	flat_load_dword v2, v[2:3] glc
	s_waitcnt vmcnt(0) lgkmcnt(0)
	buffer_invl2
	buffer_wbinvl1_vol
	v_cmp_eq_u32_e32 vcc, 0, v2
	s_and_b64 vcc, vcc, exec
	s_or_b64 s[58:59], s[58:59], vcc
.LBB2_601:                              ;   in Loop: Header=BB2_599 Depth=4
	s_andn2_b64 s[56:57], s[56:57], exec
	s_and_b64 s[60:61], s[60:61], exec
	s_mov_b64 vcc, -1
	s_or_b64 s[56:57], s[56:57], s[60:61]
	s_and_saveexec_b64 s[60:61], s[58:59]
	s_cbranch_execz .LBB2_598
; %bb.602:                              ;   in Loop: Header=BB2_599 Depth=4
	s_sleep 1
	s_trap 2
	ds_read_b64 v[2:3], v0
	s_andn2_b64 s[56:57], s[56:57], exec
	s_waitcnt lgkmcnt(0)
	v_cmp_ge_u64_e32 vcc, v[2:3], v[10:11]
	s_orn2_b64 vcc, vcc, exec
	s_branch .LBB2_598
.LBB2_603:                              ;   in Loop: Header=BB2_569 Depth=3
	s_or_b64 exec, exec, s[52:53]
	s_and_saveexec_b64 vcc, s[54:55]
	s_xor_b64 vcc, exec, vcc
	s_cbranch_execz .LBB2_605
; %bb.604:                              ;   in Loop: Header=BB2_569 Depth=3
	ds_write_b32 v0, v56
	s_trap 2
.LBB2_605:                              ;   in Loop: Header=BB2_569 Depth=3
	s_or_b64 exec, exec, s[50:51]
	;;#ASMSTART
	s_wakeup
	;;#ASMEND
.LBB2_606:                              ;   in Loop: Header=BB2_569 Depth=3
	s_or_b64 exec, exec, s[48:49]
.LBB2_607:                              ;   in Loop: Header=BB2_569 Depth=3
	s_andn2_saveexec_b64 vcc, s[46:47]
	s_cbranch_execz .LBB2_609
; %bb.608:                              ;   in Loop: Header=BB2_569 Depth=3
	s_waitcnt vmcnt(0) lgkmcnt(0)
	buffer_wbinvl1_vol
	s_barrier
.LBB2_609:                              ;   in Loop: Header=BB2_569 Depth=3
	s_or_b64 exec, exec, vcc
.LBB2_610:                              ;   in Loop: Header=BB2_569 Depth=3
	s_or_b64 exec, exec, s[22:23]
	s_trap 2
	ds_read_b32 v2, v0
	v_sub_u32_e32 v3, v14, v32
	v_min_i32_e32 v15, v15, v3
	v_cmp_lt_i32_e32 vcc, 0, v15
	s_waitcnt lgkmcnt(0)
	v_readfirstlane_b32 s22, v2
	s_cmp_eq_u32 s22, 0
	s_cselect_b64 s[22:23], -1, 0
	v_and_b32_e32 v2, 16, v55
	s_and_b64 s[22:23], vcc, s[22:23]
	v_cmp_ne_u32_e32 vcc, 0, v2
	s_and_b64 vcc, vcc, s[22:23]
	s_and_saveexec_b64 s[22:23], vcc
	s_cbranch_execz .LBB2_612
; %bb.611:                              ;   in Loop: Header=BB2_569 Depth=3
	s_waitcnt vmcnt(0)
	buffer_wbinvl1_vol
.LBB2_612:                              ;   in Loop: Header=BB2_569 Depth=3
	s_or_b64 exec, exec, s[22:23]
	v_and_b32_e32 v2, 32, v55
	v_cmp_ne_u32_e32 vcc, 0, v2
	s_and_saveexec_b64 s[22:23], vcc
	s_cbranch_execz .LBB2_568
; %bb.613:                              ;   in Loop: Header=BB2_569 Depth=3
	v_add_co_u32_e32 v16, vcc, 2, v16
	v_addc_co_u32_e32 v17, vcc, 0, v17, vcc
	flat_store_dwordx2 v[18:19], v[16:17]
	s_branch .LBB2_568
.LBB2_614:                              ;   in Loop: Header=BB2_53 Depth=1
	s_or_b64 exec, exec, s[38:39]
.LBB2_615:                              ;   in Loop: Header=BB2_53 Depth=1
	s_or_b64 exec, exec, s[36:37]
.LBB2_616:                              ;   in Loop: Header=BB2_53 Depth=1
	s_or_b64 exec, exec, s[34:35]
	s_add_i32 s22, s26, 1
	s_cmp_eq_u32 s26, s67
	s_cbranch_scc1 .LBB2_618
; %bb.617:                              ;   in Loop: Header=BB2_53 Depth=1
	s_mov_b32 s26, s22
	s_branch .LBB2_53
.LBB2_618:
	v_and_b32_e32 v0, 0x800, v55
	v_cmp_eq_u32_e32 vcc, 0, v0
	s_and_saveexec_b64 s[4:5], vcc
	s_cbranch_execz .LBB2_653
; %bb.619:
	v_and_b32_e32 v0, 48, v55
	v_cmp_ne_u32_e32 vcc, 0, v0
	s_and_saveexec_b64 s[6:7], vcc
	s_cbranch_execz .LBB2_621
; %bb.620:
	v_accvgpr_read_b32 v0, a10
	v_accvgpr_read_b32 v1, a11
	flat_store_dwordx2 v[0:1], v[16:17] offset:104
.LBB2_621:
	s_or_b64 exec, exec, s[6:7]
	s_movk_i32 s6, 0x88
	v_and_b32_e32 v0, 0x88, v55
	v_cmp_eq_u32_e32 vcc, s6, v0
	s_and_saveexec_b64 s[6:7], vcc
	s_cbranch_execz .LBB2_633
; %bb.622:
	v_add_u32_e32 v0, 6, v16
	v_and_b32_e32 v0, 7, v0
	v_mad_u64_u32 v[0:1], s[10:11], v0, 24, v[4:5]
	v_add_co_u32_e32 v2, vcc, 8, v0
	v_addc_co_u32_e32 v3, vcc, 0, v1, vcc
	s_mov_b64 s[10:11], 0
	v_mov_b32_e32 v0, 0
	s_movk_i32 s26, 0x270e
                                        ; implicit-def: $sgpr12_sgpr13
	s_branch .LBB2_627
.LBB2_623:                              ;   in Loop: Header=BB2_627 Depth=1
	s_or_b64 exec, exec, s[22:23]
	v_mov_b32_e32 v1, 0
	s_orn2_b64 s[20:21], s[20:21], exec
.LBB2_624:                              ;   in Loop: Header=BB2_627 Depth=1
	s_or_b64 exec, exec, s[18:19]
	s_and_b64 s[18:19], s[20:21], exec
	v_mov_b32_e32 v0, v1
.LBB2_625:                              ;   in Loop: Header=BB2_627 Depth=1
	s_or_b64 exec, exec, s[16:17]
	s_xor_b64 s[16:17], s[18:19], -1
	s_andn2_b64 s[12:13], s[12:13], exec
	s_and_b64 s[16:17], s[16:17], exec
	s_or_b64 s[12:13], s[12:13], s[16:17]
.LBB2_626:                              ;   in Loop: Header=BB2_627 Depth=1
	s_or_b64 exec, exec, s[14:15]
	s_and_b64 s[14:15], exec, s[12:13]
	s_or_b64 s[10:11], s[14:15], s[10:11]
	s_andn2_b64 exec, exec, s[10:11]
	s_cbranch_execz .LBB2_632
.LBB2_627:                              ; =>This Inner Loop Header: Depth=1
	flat_load_dwordx2 v[4:5], v[2:3] glc
	s_waitcnt vmcnt(0)
	s_or_b64 s[12:13], s[12:13], exec
	s_waitcnt lgkmcnt(0)
	v_cmp_ne_u64_e32 vcc, -1, v[4:5]
	s_and_saveexec_b64 s[14:15], vcc
	s_cbranch_execz .LBB2_626
; %bb.628:                              ;   in Loop: Header=BB2_627 Depth=1
	v_and_b32_e32 v1, 64, v55
	v_cmp_eq_u32_e32 vcc, 0, v1
	s_mov_b64 s[18:19], 0
	s_and_saveexec_b64 s[16:17], vcc
	s_cbranch_execz .LBB2_625
; %bb.629:                              ;   in Loop: Header=BB2_627 Depth=1
	v_add_u32_e32 v1, 1, v0
	v_cmp_lt_i32_e32 vcc, s26, v0
	s_mov_b64 s[20:21], -1
	s_and_saveexec_b64 s[18:19], vcc
	s_cbranch_execz .LBB2_624
; %bb.630:                              ;   in Loop: Header=BB2_627 Depth=1
	s_trap 2
	ds_read_b64 v[0:1], v0
	s_waitcnt lgkmcnt(0)
	flat_load_dword v0, v[0:1] glc
	s_waitcnt vmcnt(0) lgkmcnt(0)
	buffer_invl2
	buffer_wbinvl1_vol
	v_cmp_ne_u32_e32 vcc, 0, v0
	s_and_saveexec_b64 s[22:23], vcc
	s_cbranch_execz .LBB2_623
; %bb.631:                              ;   in Loop: Header=BB2_627 Depth=1
	v_or_b32_e32 v55, 64, v55
	s_xor_b64 s[20:21], exec, -1
	ds_write_b32 v0, v0
	s_trap 2
	s_branch .LBB2_623
.LBB2_632:
	s_or_b64 exec, exec, s[10:11]
.LBB2_633:
	s_or_b64 exec, exec, s[6:7]
	v_and_b32_e32 v0, 0x2000, v55
	v_cmp_ne_u32_e32 vcc, 0, v0
	s_and_saveexec_b64 s[6:7], vcc
	s_cbranch_execz .LBB2_635
; %bb.634:
	s_trap 2
	ds_read_b64 v[0:1], v0
	v_accvgpr_read_b32 v2, a8
	v_accvgpr_read_b32 v3, a9
	s_waitcnt lgkmcnt(0)
	flat_store_dwordx2 v[2:3], v[0:1] offset:16
.LBB2_635:
	s_or_b64 exec, exec, s[6:7]
	v_accvgpr_read_b32 v0, a0
	v_cmp_ne_u32_e32 vcc, 64, v0
	s_and_b64 exec, exec, vcc
	s_cbranch_execz .LBB2_653
; %bb.636:
	v_accvgpr_read_b32 v0, a0
	v_accvgpr_read_b32 v1, a6
	v_cmp_ne_u32_sdwa s[6:7], v1, v0 src0_sel:WORD_0 src1_sel:DWORD
	s_and_saveexec_b64 s[10:11], s[6:7]
	s_xor_b64 s[6:7], exec, s[10:11]
	s_cbranch_execz .LBB2_651
; %bb.637:
	v_accvgpr_read_b32 v0, a1
	v_and_b32_e32 v0, 63, v0
	v_cmp_eq_u32_e32 vcc, 0, v0
	s_and_saveexec_b64 s[10:11], vcc
	s_cbranch_execz .LBB2_650
; %bb.638:
	s_mov_b64 s[14:15], exec
	v_mbcnt_lo_u32_b32 v0, s14, 0
	v_mbcnt_hi_u32_b32 v0, s15, v0
	v_cmp_eq_u32_e32 vcc, 0, v0
	s_waitcnt vmcnt(0) lgkmcnt(0)
	buffer_wbinvl1_vol
	s_and_saveexec_b64 s[12:13], vcc
	s_cbranch_execz .LBB2_640
; %bb.639:
	s_bcnt1_i32_b64 s14, s[14:15]
	v_mov_b32_e32 v0, s14
	v_mov_b32_e32 v1, 0
	ds_add_u64 v0, v[0:1]
	s_trap 2
.LBB2_640:
	s_or_b64 exec, exec, s[12:13]
	v_accvgpr_read_b32 v1, a0
	v_ashrrev_i32_e32 v0, 31, v1
	v_lshrrev_b32_e32 v0, 26, v0
	v_add_u32_e32 v0, v1, v0
	v_ashrrev_i32_e32 v0, 6, v0
	s_trap 2
	ds_read_b64 v[2:3], v0
	v_ashrrev_i32_e32 v1, 31, v0
	v_add_co_u32_e32 v0, vcc, v10, v0
	v_addc_co_u32_e32 v1, vcc, v11, v1, vcc
	s_waitcnt lgkmcnt(0)
	v_cmp_lt_u64_e32 vcc, v[2:3], v[0:1]
	s_and_saveexec_b64 s[12:13], vcc
	s_cbranch_execz .LBB2_649
; %bb.641:
	s_mov_b32 s28, 0
	s_mov_b64 s[14:15], 0
                                        ; implicit-def: $sgpr16_sgpr17
                                        ; implicit-def: $sgpr18_sgpr19
	s_branch .LBB2_643
.LBB2_642:                              ;   in Loop: Header=BB2_643 Depth=1
	s_or_b64 exec, exec, s[26:27]
	s_and_b64 s[20:21], exec, s[22:23]
	s_or_b64 s[14:15], s[20:21], s[14:15]
	s_andn2_b64 s[16:17], s[16:17], exec
	s_and_b64 s[20:21], s[18:19], exec
	s_or_b64 s[16:17], s[16:17], s[20:21]
	s_andn2_b64 exec, exec, s[14:15]
	s_cbranch_execz .LBB2_647
.LBB2_643:                              ; =>This Inner Loop Header: Depth=1
	s_add_i32 s28, s28, 1
	s_cmpk_lg_i32 s28, 0x2710
	s_cselect_b64 s[20:21], -1, 0
	s_and_b64 vcc, exec, s[20:21]
                                        ; implicit-def: $sgpr26_sgpr27
	s_cbranch_vccnz .LBB2_645
; %bb.644:                              ;   in Loop: Header=BB2_643 Depth=1
	s_trap 2
	ds_read_b64 v[2:3], v0
	s_andn2_b64 s[20:21], s[20:21], exec
	s_mov_b32 s28, 0
	s_mov_b64 s[26:27], -1
	s_waitcnt lgkmcnt(0)
	flat_load_dword v2, v[2:3] glc
	s_waitcnt vmcnt(0) lgkmcnt(0)
	buffer_invl2
	buffer_wbinvl1_vol
	v_cmp_eq_u32_e32 vcc, 0, v2
	s_and_b64 s[22:23], vcc, exec
	s_or_b64 s[20:21], s[20:21], s[22:23]
.LBB2_645:                              ;   in Loop: Header=BB2_643 Depth=1
	s_andn2_b64 s[18:19], s[18:19], exec
	s_and_b64 s[26:27], s[26:27], exec
	s_mov_b64 s[22:23], -1
	s_or_b64 s[18:19], s[18:19], s[26:27]
	s_and_saveexec_b64 s[26:27], s[20:21]
	s_cbranch_execz .LBB2_642
; %bb.646:                              ;   in Loop: Header=BB2_643 Depth=1
	s_sleep 1
	s_trap 2
	ds_read_b64 v[2:3], v0
	s_andn2_b64 s[18:19], s[18:19], exec
	s_waitcnt lgkmcnt(0)
	v_cmp_ge_u64_e32 vcc, v[2:3], v[0:1]
	s_orn2_b64 s[22:23], vcc, exec
	s_branch .LBB2_642
.LBB2_647:
	s_or_b64 exec, exec, s[14:15]
	s_and_saveexec_b64 s[14:15], s[16:17]
	s_xor_b64 s[14:15], exec, s[14:15]
	s_cbranch_execz .LBB2_649
; %bb.648:
	v_mov_b32_e32 v0, 1
	ds_write_b32 v0, v0
	s_trap 2
.LBB2_649:
	s_or_b64 exec, exec, s[12:13]
	;;#ASMSTART
	s_wakeup
	;;#ASMEND
.LBB2_650:
	s_or_b64 exec, exec, s[10:11]
.LBB2_651:
	s_andn2_saveexec_b64 s[6:7], s[6:7]
	s_cbranch_execz .LBB2_653
; %bb.652:
	s_waitcnt vmcnt(0) lgkmcnt(0)
	buffer_wbinvl1_vol
	s_barrier
.LBB2_653:
	s_or_b64 exec, exec, s[4:5]
.LBB2_654:
	s_andn2_saveexec_b64 s[26:27], s[24:25]
	s_cbranch_execz .LBB2_656
; %bb.655:
	s_getpc_b64 s[4:5]
	s_add_u32 s4, s4, __PRETTY_FUNCTION__._ZN10PrimitivesIa7FuncSumIaE12FanSymmetricILi1EELi0E11ProtoSimpleILi2ELi2ELi0ELi1ELi0ELi0EELi0ELb0ELi0ELi0ELi0EEC2EiiPKiS8_PKvPvmhhhP15ncclDevWorkCollP14ncclDevWorkP2pii@rel32@lo+4
	s_addc_u32 s5, s5, __PRETTY_FUNCTION__._ZN10PrimitivesIa7FuncSumIaE12FanSymmetricILi1EELi0E11ProtoSimpleILi2ELi2ELi0ELi1ELi0ELi0EELi0ELb0ELi0ELi0ELi0EEC2EiiPKiS8_PKvPvmhhhP15ncclDevWorkCollP14ncclDevWorkP2pii@rel32@hi+12
	v_mov_b32_e32 v0, s4
	v_mov_b32_e32 v1, s5
	s_getpc_b64 s[6:7]
	s_add_u32 s6, s6, __assert_fail@rel32@lo+4
	s_addc_u32 s7, s7, __assert_fail@rel32@hi+12
	s_swappc_b64 s[30:31], s[6:7]
	; divergent unreachable
.LBB2_656:
	s_or_b64 exec, exec, s[26:27]
	buffer_load_dword a36, off, s[0:3], s33 ; 4-byte Folded Reload
	buffer_load_dword a34, off, s[0:3], s33 offset:4 ; 4-byte Folded Reload
	buffer_load_dword a33, off, s[0:3], s33 offset:8 ; 4-byte Folded Reload
	buffer_load_dword a32, off, s[0:3], s33 offset:12 ; 4-byte Folded Reload
	buffer_load_dword v62, off, s[0:3], s33 offset:16 ; 4-byte Folded Reload
	buffer_load_dword v61, off, s[0:3], s33 offset:20 ; 4-byte Folded Reload
	buffer_load_dword v60, off, s[0:3], s33 offset:24 ; 4-byte Folded Reload
	buffer_load_dword v59, off, s[0:3], s33 offset:28 ; 4-byte Folded Reload
	buffer_load_dword v58, off, s[0:3], s33 offset:32 ; 4-byte Folded Reload
	buffer_load_dword v57, off, s[0:3], s33 offset:36 ; 4-byte Folded Reload
	buffer_load_dword v56, off, s[0:3], s33 offset:40 ; 4-byte Folded Reload
	buffer_load_dword v47, off, s[0:3], s33 offset:44 ; 4-byte Folded Reload
	buffer_load_dword v46, off, s[0:3], s33 offset:48 ; 4-byte Folded Reload
	buffer_load_dword v45, off, s[0:3], s33 offset:52 ; 4-byte Folded Reload
	buffer_load_dword v44, off, s[0:3], s33 offset:56 ; 4-byte Folded Reload
	buffer_load_dword v43, off, s[0:3], s33 offset:60 ; 4-byte Folded Reload
	buffer_load_dword v42, off, s[0:3], s33 offset:64 ; 4-byte Folded Reload
	buffer_load_dword v41, off, s[0:3], s33 offset:68 ; 4-byte Folded Reload
	buffer_load_dword v40, off, s[0:3], s33 offset:72 ; 4-byte Folded Reload
	v_readlane_b32 s30, v63, 43
	v_readlane_b32 s31, v63, 44
	;; [unrolled: 1-line block ×46, first 2 shown]
	s_or_saveexec_b64 s[6:7], -1
	buffer_load_dword v63, off, s[0:3], s33 offset:76 ; 4-byte Folded Reload
	s_mov_b64 exec, s[6:7]
	s_addk_i32 s32, 0xe800
	s_mov_b32 s33, s4
	s_waitcnt vmcnt(0) lgkmcnt(0)
	s_setpc_b64 s[30:31]
.Lfunc_end2:
	.size	_ZN12_GLOBAL__N_17runRingIa7FuncSumIaE11ProtoSimpleILi2ELi2ELi0ELi1ELi0ELi0EELi0ELi1ELi0EEEviiP15ncclDevWorkColl, .Lfunc_end2-_ZN12_GLOBAL__N_17runRingIa7FuncSumIaE11ProtoSimpleILi2ELi2ELi0ELi1ELi0ELi0EELi0ELi1ELi0EEEviiP15ncclDevWorkColl
                                        ; -- End function
	.section	.AMDGPU.csdata,"",@progbits
; Function info:
; codeLenInByte = 22176
; NumSgprs: 81
; NumVgprs: 64
; NumAgprs: 37
; TotalNumVgprs: 101
; ScratchSize: 160
; MemoryBound: 0
	.text
	.p2align	2                               ; -- Begin function _Z50ncclDevFunc_AlltoAllPivot_RING_SIMPLE_Sum_i8_0_0_1v
	.type	_Z50ncclDevFunc_AlltoAllPivot_RING_SIMPLE_Sum_i8_0_0_1v,@function
_Z50ncclDevFunc_AlltoAllPivot_RING_SIMPLE_Sum_i8_0_0_1v: ; @_Z50ncclDevFunc_AlltoAllPivot_RING_SIMPLE_Sum_i8_0_0_1v
; %bb.0:
	s_waitcnt vmcnt(0) expcnt(0) lgkmcnt(0)
	s_mov_b32 s4, s33
	s_mov_b32 s33, s32
	s_or_saveexec_b64 s[6:7], -1
	buffer_store_dword v43, off, s[0:3], s33 offset:16 ; 4-byte Folded Spill
	s_mov_b64 exec, s[6:7]
	v_writelane_b32 v43, s4, 53
	s_addk_i32 s32, 0x800
	buffer_store_dword v40, off, s[0:3], s33 offset:12 ; 4-byte Folded Spill
	buffer_store_dword v41, off, s[0:3], s33 offset:8 ; 4-byte Folded Spill
	;; [unrolled: 1-line block ×3, first 2 shown]
	buffer_store_dword v63, off, s[0:3], s33 ; 4-byte Folded Spill
	v_writelane_b32 v43, s34, 0
	v_writelane_b32 v43, s35, 1
	;; [unrolled: 1-line block ×53, first 2 shown]
	s_trap 2
	ds_read_b32 v0, v0
	v_mov_b32_e32 v40, v31
	s_mov_b32 s77, s12
	s_mov_b64 s[78:79], s[8:9]
	s_waitcnt lgkmcnt(0)
	v_cmp_gt_i32_e32 vcc, 1, v0
	s_cbranch_vccnz .LBB3_8
; %bb.1:
	s_mov_b32 s84, 0
	v_and_b32_e32 v41, 0x3ff, v40
	s_mov_b64 s[80:81], src_shared_base
	v_mov_b32_e32 v42, 6
	s_branch .LBB3_3
.LBB3_2:                                ;   in Loop: Header=BB3_3 Depth=1
	s_or_b64 exec, exec, s[82:83]
	s_trap 2
	ds_read_b32 v0, v0
	s_add_i32 s84, s84, 1
	s_waitcnt lgkmcnt(0)
	v_cmp_lt_i32_e32 vcc, s84, v0
	s_cbranch_vccz .LBB3_8
.LBB3_3:                                ; =>This Inner Loop Header: Depth=1
	s_trap 2
	ds_read_b32 v0, v0
	s_cmp_eq_u32 s84, 0
	s_cbranch_scc1 .LBB3_6
; %bb.4:                                ;   in Loop: Header=BB3_3 Depth=1
	s_trap 2
	s_waitcnt lgkmcnt(0)
	ds_read_b32 v1, v0
	s_waitcnt lgkmcnt(0)
	v_xor_b32_e32 v1, v1, v0
	v_and_b32_e32 v1, 0xff0000, v1
	v_cmp_eq_u32_e32 vcc, 0, v1
	s_cbranch_vccnz .LBB3_6
; %bb.5:                                ;   in Loop: Header=BB3_3 Depth=1
	s_barrier
	ds_read_b32 v0, v0
.LBB3_6:                                ;   in Loop: Header=BB3_3 Depth=1
	s_waitcnt lgkmcnt(0)
	v_lshlrev_b32_sdwa v1, v42, v0 dst_sel:DWORD dst_unused:UNUSED_PAD src0_sel:DWORD src1_sel:BYTE_2
	v_cmp_lt_u32_e32 vcc, v41, v1
	s_and_saveexec_b64 s[82:83], vcc
	s_cbranch_execz .LBB3_2
; %bb.7:                                ;   in Loop: Header=BB3_3 Depth=1
	s_mov_b64 s[8:9], s[78:79]
	s_mov_b32 s12, s77
	v_mov_b32_e32 v31, v40
	v_mov_b32_e32 v0, v41
	;; [unrolled: 1-line block ×3, first 2 shown]
	s_getpc_b64 s[4:5]
	s_add_u32 s4, s4, _ZN12_GLOBAL__N_17runRingIa7FuncSumIaE11ProtoSimpleILi2ELi2ELi0ELi1ELi0ELi0EELi0ELi1ELi0EEEviiP15ncclDevWorkColl@rel32@lo+4
	s_addc_u32 s5, s5, _ZN12_GLOBAL__N_17runRingIa7FuncSumIaE11ProtoSimpleILi2ELi2ELi0ELi1ELi0ELi0EELi0ELi1ELi0EEEviiP15ncclDevWorkColl@rel32@hi+12
	s_swappc_b64 s[30:31], s[4:5]
	s_branch .LBB3_2
.LBB3_8:
	buffer_load_dword v63, off, s[0:3], s33 ; 4-byte Folded Reload
	buffer_load_dword v42, off, s[0:3], s33 offset:4 ; 4-byte Folded Reload
	buffer_load_dword v41, off, s[0:3], s33 offset:8 ; 4-byte Folded Reload
	;; [unrolled: 1-line block ×3, first 2 shown]
	v_readlane_b32 s30, v43, 51
	v_readlane_b32 s31, v43, 52
	v_readlane_b32 s84, v43, 50
	v_readlane_b32 s83, v43, 49
	v_readlane_b32 s82, v43, 48
	v_readlane_b32 s81, v43, 47
	v_readlane_b32 s80, v43, 46
	v_readlane_b32 s79, v43, 45
	v_readlane_b32 s78, v43, 44
	v_readlane_b32 s77, v43, 43
	v_readlane_b32 s76, v43, 42
	v_readlane_b32 s75, v43, 41
	v_readlane_b32 s74, v43, 40
	v_readlane_b32 s73, v43, 39
	v_readlane_b32 s72, v43, 38
	v_readlane_b32 s71, v43, 37
	v_readlane_b32 s70, v43, 36
	v_readlane_b32 s69, v43, 35
	v_readlane_b32 s68, v43, 34
	v_readlane_b32 s67, v43, 33
	v_readlane_b32 s66, v43, 32
	v_readlane_b32 s65, v43, 31
	v_readlane_b32 s64, v43, 30
	v_readlane_b32 s63, v43, 29
	v_readlane_b32 s62, v43, 28
	v_readlane_b32 s61, v43, 27
	v_readlane_b32 s60, v43, 26
	v_readlane_b32 s59, v43, 25
	v_readlane_b32 s58, v43, 24
	v_readlane_b32 s57, v43, 23
	v_readlane_b32 s56, v43, 22
	v_readlane_b32 s55, v43, 21
	v_readlane_b32 s54, v43, 20
	v_readlane_b32 s53, v43, 19
	v_readlane_b32 s52, v43, 18
	v_readlane_b32 s51, v43, 17
	v_readlane_b32 s50, v43, 16
	v_readlane_b32 s49, v43, 15
	v_readlane_b32 s48, v43, 14
	v_readlane_b32 s47, v43, 13
	v_readlane_b32 s46, v43, 12
	v_readlane_b32 s45, v43, 11
	v_readlane_b32 s44, v43, 10
	v_readlane_b32 s43, v43, 9
	v_readlane_b32 s42, v43, 8
	v_readlane_b32 s41, v43, 7
	v_readlane_b32 s40, v43, 6
	v_readlane_b32 s39, v43, 5
	v_readlane_b32 s38, v43, 4
	v_readlane_b32 s37, v43, 3
	v_readlane_b32 s36, v43, 2
	v_readlane_b32 s35, v43, 1
	v_readlane_b32 s34, v43, 0
	v_readlane_b32 s4, v43, 53
	s_or_saveexec_b64 s[6:7], -1
	buffer_load_dword v43, off, s[0:3], s33 offset:16 ; 4-byte Folded Reload
	s_mov_b64 exec, s[6:7]
	s_addk_i32 s32, 0xf800
	s_mov_b32 s33, s4
	s_waitcnt vmcnt(0)
	s_setpc_b64 s[30:31]
.Lfunc_end3:
	.size	_Z50ncclDevFunc_AlltoAllPivot_RING_SIMPLE_Sum_i8_0_0_1v, .Lfunc_end3-_Z50ncclDevFunc_AlltoAllPivot_RING_SIMPLE_Sum_i8_0_0_1v
                                        ; -- End function
	.section	.AMDGPU.csdata,"",@progbits
; Function info:
; codeLenInByte = 1228
; NumSgprs: 89
; NumVgprs: 64
; NumAgprs: 37
; TotalNumVgprs: 101
; ScratchSize: 192
; MemoryBound: 0
	.text
	.p2align	2                               ; -- Begin function _ZN12_GLOBAL__N_17runRingIa7FuncSumIaE11ProtoSimpleILi2ELi2ELi0ELi2ELi0ELi0EELi0ELi2ELi0EEEviiP15ncclDevWorkColl
	.type	_ZN12_GLOBAL__N_17runRingIa7FuncSumIaE11ProtoSimpleILi2ELi2ELi0ELi2ELi0ELi0EELi0ELi2ELi0EEEviiP15ncclDevWorkColl,@function
_ZN12_GLOBAL__N_17runRingIa7FuncSumIaE11ProtoSimpleILi2ELi2ELi0ELi2ELi0ELi0EELi0ELi2ELi0EEEviiP15ncclDevWorkColl: ; @_ZN12_GLOBAL__N_17runRingIa7FuncSumIaE11ProtoSimpleILi2ELi2ELi0ELi2ELi0ELi0EELi0ELi2ELi0EEEviiP15ncclDevWorkColl
; %bb.0:
	s_waitcnt vmcnt(0) expcnt(0) lgkmcnt(0)
	s_mov_b32 s4, s33
	s_mov_b32 s33, s32
	s_or_saveexec_b64 s[6:7], -1
	buffer_store_dword v63, off, s[0:3], s33 offset:112 ; 4-byte Folded Spill
	s_mov_b64 exec, s[6:7]
	v_writelane_b32 v63, s4, 45
	s_addk_i32 s32, 0x2000
	buffer_store_dword v40, off, s[0:3], s33 offset:108 ; 4-byte Folded Spill
	buffer_store_dword v41, off, s[0:3], s33 offset:104 ; 4-byte Folded Spill
	buffer_store_dword v42, off, s[0:3], s33 offset:100 ; 4-byte Folded Spill
	buffer_store_dword v43, off, s[0:3], s33 offset:96 ; 4-byte Folded Spill
	buffer_store_dword v44, off, s[0:3], s33 offset:92 ; 4-byte Folded Spill
	buffer_store_dword v45, off, s[0:3], s33 offset:88 ; 4-byte Folded Spill
	buffer_store_dword v46, off, s[0:3], s33 offset:84 ; 4-byte Folded Spill
	buffer_store_dword v47, off, s[0:3], s33 offset:80 ; 4-byte Folded Spill
	buffer_store_dword v56, off, s[0:3], s33 offset:76 ; 4-byte Folded Spill
	buffer_store_dword v57, off, s[0:3], s33 offset:72 ; 4-byte Folded Spill
	buffer_store_dword v58, off, s[0:3], s33 offset:68 ; 4-byte Folded Spill
	buffer_store_dword v59, off, s[0:3], s33 offset:64 ; 4-byte Folded Spill
	buffer_store_dword v60, off, s[0:3], s33 offset:60 ; 4-byte Folded Spill
	buffer_store_dword v61, off, s[0:3], s33 offset:56 ; 4-byte Folded Spill
	buffer_store_dword v62, off, s[0:3], s33 offset:52 ; 4-byte Folded Spill
	buffer_store_dword a32, off, s[0:3], s33 offset:48 ; 4-byte Folded Spill
	buffer_store_dword a33, off, s[0:3], s33 offset:44 ; 4-byte Folded Spill
	buffer_store_dword a34, off, s[0:3], s33 offset:40 ; 4-byte Folded Spill
	buffer_store_dword a35, off, s[0:3], s33 offset:36 ; 4-byte Folded Spill
	buffer_store_dword a36, off, s[0:3], s33 offset:32 ; 4-byte Folded Spill
	buffer_store_dword a37, off, s[0:3], s33 offset:28 ; 4-byte Folded Spill
	buffer_store_dword a38, off, s[0:3], s33 offset:24 ; 4-byte Folded Spill
	buffer_store_dword a40, off, s[0:3], s33 offset:20 ; 4-byte Folded Spill
	buffer_store_dword a41, off, s[0:3], s33 offset:16 ; 4-byte Folded Spill
	buffer_store_dword a42, off, s[0:3], s33 offset:12 ; 4-byte Folded Spill
	buffer_store_dword a43, off, s[0:3], s33 offset:8 ; 4-byte Folded Spill
	buffer_store_dword a44, off, s[0:3], s33 offset:4 ; 4-byte Folded Spill
	buffer_store_dword a45, off, s[0:3], s33 ; 4-byte Folded Spill
	v_writelane_b32 v63, s34, 0
	v_writelane_b32 v63, s35, 1
	;; [unrolled: 1-line block ×45, first 2 shown]
	v_mov_b32_e32 v39, v3
	v_mov_b32_e32 v38, v2
	s_trap 2
	flat_load_dword v2, v[38:39]
	flat_load_dwordx4 v[4:7], v[38:39] offset:72
	flat_load_dwordx2 v[8:9], v[38:39] offset:88
	v_accvgpr_write_b32 a0, v1
	ds_read_b32 v1, v0
                                        ; implicit-def: $vgpr34_vgpr35
	s_waitcnt lgkmcnt(0)
	v_readfirstlane_b32 s66, v1
	s_waitcnt vmcnt(0)
	v_and_b32_e32 v10, 0xff, v2
	v_bfe_u32 v11, v2, 8, 8
	v_cmp_ne_u32_e32 vcc, v1, v10
	s_and_saveexec_b64 s[4:5], vcc
	s_xor_b64 s[4:5], exec, s[4:5]
	s_cbranch_execz .LBB4_6
; %bb.1:
	flat_load_dwordx2 v[2:3], v[38:39] offset:96
	v_cmp_ne_u32_e32 vcc, v11, v1
                                        ; implicit-def: $vgpr34_vgpr35
	s_and_saveexec_b64 s[6:7], vcc
	s_xor_b64 s[6:7], exec, s[6:7]
	s_cbranch_execz .LBB4_3
; %bb.2:
	s_waitcnt vmcnt(0) lgkmcnt(0)
	v_lshrrev_b64 v[34:35], 12, v[2:3]
                                        ; implicit-def: $vgpr2_vgpr3
.LBB4_3:
	s_andn2_saveexec_b64 s[6:7], s[6:7]
	s_cbranch_execz .LBB4_5
; %bb.4:
	s_waitcnt vmcnt(0) lgkmcnt(0)
	v_lshrrev_b32_e32 v34, 1, v3
.LBB4_5:
	s_or_b64 exec, exec, s[6:7]
.LBB4_6:
	s_andn2_saveexec_b64 s[4:5], s[4:5]
	s_cbranch_execz .LBB4_8
; %bb.7:
	s_waitcnt vmcnt(0) lgkmcnt(0)
	flat_load_dwordx2 v[2:3], v[38:39] offset:96
	s_waitcnt vmcnt(0) lgkmcnt(0)
	v_lshlrev_b64 v[34:35], 9, v[2:3]
.LBB4_8:
	s_or_b64 exec, exec, s[4:5]
	s_waitcnt vmcnt(0) lgkmcnt(0)
	flat_load_ushort v3, v[38:39] offset:8
	v_sub_u32_e32 v2, v1, v10
	v_xad_u32 v1, v10, -1, v11
	v_ashrrev_i32_e32 v12, 31, v1
	v_mul_lo_u32 v7, v7, v1
	v_mad_u64_u32 v[4:5], s[6:7], v6, v1, v[4:5]
	v_sub_u32_e32 v1, 0, v2
	v_mul_lo_u32 v6, v6, v12
	v_max_i32_e32 v12, v2, v1
	v_add3_u32 v1, v7, v5, v6
	v_add_co_u32_e32 v5, vcc, v4, v8
	v_addc_co_u32_e32 v35, vcc, v1, v9, vcc
	v_sub_co_u32_e32 v1, vcc, 0, v5
	v_accvgpr_write_b32 a4, v5
	v_and_b32_e32 v5, v5, v1
	v_subb_co_u32_e32 v4, vcc, 0, v35, vcc
	v_and_b32_e32 v7, v35, v4
	v_cvt_f64_u32_e32 v[16:17], v7
	s_mov_b32 s4, 0
	v_cvt_f64_u32_e32 v[4:5], v5
	v_ldexp_f64 v[16:17], v[16:17], 32
	s_mov_b32 s5, 0x40700000
	v_add_f64 v[4:5], v[16:17], v[4:5]
	v_min_f64 v[4:5], v[4:5], s[4:5]
	v_cvt_i32_f64_e32 v42, v[4:5]
	v_ashrrev_i32_e32 v37, 31, v42
	v_mov_b32_e32 v14, 0
	v_or_b32_e32 v15, v35, v37
	v_cmp_ne_u64_e32 vcc, 0, v[14:15]
                                        ; implicit-def: $vgpr28_vgpr29
	s_waitcnt vmcnt(0) lgkmcnt(0)
	v_lshrrev_b32_e32 v1, 1, v3
	v_lshlrev_b32_e32 v6, 1, v1
	v_sub_u32_e32 v3, 0, v6
	v_max_i32_e32 v8, v6, v3
	v_cvt_f32_u32_e32 v3, v8
	v_sub_u32_e32 v4, 0, v8
	v_rcp_iflag_f32_e32 v3, v3
	v_mul_f32_e32 v3, 0x4f7ffffe, v3
	v_cvt_u32_f32_e32 v3, v3
	v_mul_lo_u32 v4, v4, v3
	v_mul_hi_u32 v4, v3, v4
	v_add_u32_e32 v3, v3, v4
	s_and_saveexec_b64 s[4:5], vcc
	s_xor_b64 s[6:7], exec, s[4:5]
	s_cbranch_execz .LBB4_10
; %bb.9:
	v_cvt_f32_u32_e32 v4, v42
	v_cvt_f32_u32_e32 v5, v37
	v_sub_co_u32_e32 v13, vcc, 0, v42
	v_subb_co_u32_e32 v16, vcc, 0, v37, vcc
	v_madmk_f32 v4, v5, 0x4f800000, v4
	v_rcp_f32_e32 v4, v4
	v_mul_f32_e32 v4, 0x5f7ffffc, v4
	v_mul_f32_e32 v5, 0x2f800000, v4
	v_trunc_f32_e32 v5, v5
	v_madmk_f32 v4, v5, 0xcf800000, v4
	v_cvt_u32_f32_e32 v7, v5
	v_cvt_u32_f32_e32 v9, v4
	v_mul_lo_u32 v14, v13, v7
	v_mul_lo_u32 v15, v16, v9
	v_mad_u64_u32 v[4:5], s[4:5], v13, v9, 0
	v_add3_u32 v5, v5, v14, v15
	v_mad_u64_u32 v[14:15], s[4:5], v9, v5, 0
	v_mul_hi_u32 v17, v9, v4
	v_add_co_u32_e32 v17, vcc, v17, v14
	v_addc_co_u32_e32 v18, vcc, 0, v15, vcc
	v_mad_u64_u32 v[14:15], s[4:5], v7, v5, 0
	v_mad_u64_u32 v[4:5], s[4:5], v7, v4, 0
	v_add_co_u32_e32 v4, vcc, v17, v4
	v_addc_co_u32_e32 v4, vcc, v18, v5, vcc
	v_addc_co_u32_e32 v5, vcc, 0, v15, vcc
	v_add_co_u32_e32 v4, vcc, v4, v14
	v_addc_co_u32_e32 v5, vcc, 0, v5, vcc
	v_add_co_u32_e32 v9, vcc, v9, v4
	v_addc_co_u32_e32 v7, vcc, v7, v5, vcc
	v_mul_lo_u32 v14, v13, v7
	v_mul_lo_u32 v15, v16, v9
	v_mad_u64_u32 v[4:5], s[4:5], v13, v9, 0
	v_add3_u32 v5, v5, v14, v15
	v_mad_u64_u32 v[16:17], s[4:5], v7, v4, 0
	v_mad_u64_u32 v[18:19], s[4:5], v9, v5, 0
	v_mul_hi_u32 v4, v9, v4
	v_add_co_u32_e32 v4, vcc, v4, v18
	v_mad_u64_u32 v[14:15], s[4:5], v7, v5, 0
	v_addc_co_u32_e32 v5, vcc, 0, v19, vcc
	v_add_co_u32_e32 v4, vcc, v4, v16
	v_addc_co_u32_e32 v4, vcc, v5, v17, vcc
	v_addc_co_u32_e32 v5, vcc, 0, v15, vcc
	v_add_co_u32_e32 v4, vcc, v4, v14
	v_addc_co_u32_e32 v5, vcc, 0, v5, vcc
	v_add_co_u32_e32 v9, vcc, v9, v4
	v_addc_co_u32_e32 v7, vcc, v7, v5, vcc
	v_accvgpr_read_b32 v17, a4
	v_mad_u64_u32 v[4:5], s[4:5], v17, v7, 0
	v_mul_hi_u32 v13, v17, v9
	v_add_co_u32_e32 v13, vcc, v13, v4
	v_addc_co_u32_e32 v16, vcc, 0, v5, vcc
	v_mad_u64_u32 v[14:15], s[4:5], v35, v9, 0
	v_mad_u64_u32 v[4:5], s[4:5], v35, v7, 0
	v_add_co_u32_e32 v7, vcc, v13, v14
	v_addc_co_u32_e32 v7, vcc, v16, v15, vcc
	v_addc_co_u32_e32 v5, vcc, 0, v5, vcc
	v_add_co_u32_e32 v7, vcc, v7, v4
	v_addc_co_u32_e32 v9, vcc, 0, v5, vcc
	v_mul_lo_u32 v13, v37, v7
	v_mul_lo_u32 v14, v42, v9
	v_mad_u64_u32 v[4:5], s[4:5], v42, v7, 0
	v_add3_u32 v5, v5, v14, v13
	v_sub_u32_e32 v13, v35, v5
	v_sub_co_u32_e32 v4, vcc, v17, v4
	v_subb_co_u32_e64 v13, s[4:5], v13, v37, vcc
	v_sub_co_u32_e64 v14, s[4:5], v4, v42
	v_subbrev_co_u32_e64 v13, s[4:5], 0, v13, s[4:5]
	v_cmp_ge_u32_e64 s[4:5], v13, v37
	v_cndmask_b32_e64 v15, 0, -1, s[4:5]
	v_cmp_ge_u32_e64 s[4:5], v14, v42
	v_cndmask_b32_e64 v14, 0, -1, s[4:5]
	v_cmp_eq_u32_e64 s[4:5], v13, v37
	v_cndmask_b32_e64 v13, v15, v14, s[4:5]
	v_add_co_u32_e64 v14, s[4:5], 2, v7
	v_addc_co_u32_e64 v15, s[4:5], 0, v9, s[4:5]
	v_add_co_u32_e64 v16, s[4:5], 1, v7
	v_addc_co_u32_e64 v17, s[4:5], 0, v9, s[4:5]
	v_subb_co_u32_e32 v5, vcc, v35, v5, vcc
	v_cmp_ne_u32_e64 s[4:5], 0, v13
	v_cmp_ge_u32_e32 vcc, v5, v37
	v_cndmask_b32_e64 v13, v17, v15, s[4:5]
	v_cndmask_b32_e64 v15, 0, -1, vcc
	v_cmp_ge_u32_e32 vcc, v4, v42
	v_cndmask_b32_e64 v4, 0, -1, vcc
	v_cmp_eq_u32_e32 vcc, v5, v37
	v_cndmask_b32_e32 v4, v15, v4, vcc
	v_cmp_ne_u32_e32 vcc, 0, v4
	v_cndmask_b32_e64 v4, v16, v14, s[4:5]
	v_cndmask_b32_e32 v29, v9, v13, vcc
	v_cndmask_b32_e32 v28, v7, v4, vcc
.LBB4_10:
	s_or_saveexec_b64 s[4:5], s[6:7]
	v_mad_u64_u32 v[4:5], s[6:7], v12, v3, 0
	s_xor_b64 exec, exec, s[4:5]
	s_cbranch_execz .LBB4_12
; %bb.11:
	v_cvt_f32_u32_e32 v3, v42
	v_sub_u32_e32 v4, 0, v42
	v_accvgpr_read_b32 v9, a4
	v_mov_b32_e32 v29, 0
	v_rcp_iflag_f32_e32 v3, v3
	v_mul_f32_e32 v3, 0x4f7ffffe, v3
	v_cvt_u32_f32_e32 v3, v3
	v_mul_lo_u32 v4, v4, v3
	v_mul_hi_u32 v4, v3, v4
	v_add_u32_e32 v3, v3, v4
	v_mul_hi_u32 v3, v9, v3
	v_mul_lo_u32 v4, v3, v42
	v_sub_u32_e32 v4, v9, v4
	v_add_u32_e32 v7, 1, v3
	v_sub_u32_e32 v9, v4, v42
	v_cmp_ge_u32_e32 vcc, v4, v42
	v_cndmask_b32_e32 v4, v4, v9, vcc
	v_cndmask_b32_e32 v3, v3, v7, vcc
	v_add_u32_e32 v7, 1, v3
	v_cmp_ge_u32_e32 vcc, v4, v42
	v_cndmask_b32_e32 v28, v3, v7, vcc
.LBB4_12:
	s_or_b64 exec, exec, s[4:5]
	v_sub_u32_e32 v3, v11, v10
	v_add_u16_e32 v3, 1, v3
	v_lshrrev_b16_e32 v4, 15, v3
	v_add_u16_e32 v3, v3, v4
	v_ashrrev_i16_e32 v3, 1, v3
	v_bfe_i32 v30, v3, 0, 16
	v_ashrrev_i32_e32 v3, 31, v30
	v_or_b32_e32 v11, v29, v3
	v_mov_b32_e32 v10, 0
	v_cmp_ne_u64_e32 vcc, 0, v[10:11]
                                        ; implicit-def: $vgpr44_vgpr45
	s_and_saveexec_b64 s[4:5], vcc
	s_xor_b64 s[6:7], exec, s[4:5]
	s_cbranch_execz .LBB4_14
; %bb.13:
	v_mov_b32_e32 v4, v3
	v_mov_b32_e32 v7, v3
	v_add_co_u32_e32 v9, vcc, v30, v4
	v_addc_co_u32_e32 v3, vcc, v3, v7, vcc
	v_xor_b32_e32 v3, v3, v7
	v_xor_b32_e32 v9, v9, v4
	v_cvt_f32_u32_e32 v10, v9
	v_cvt_f32_u32_e32 v11, v3
	v_sub_co_u32_e32 v16, vcc, 0, v9
	v_subb_co_u32_e32 v17, vcc, 0, v3, vcc
	v_madmk_f32 v10, v11, 0x4f800000, v10
	v_rcp_f32_e32 v10, v10
	v_mul_f32_e32 v10, 0x5f7ffffc, v10
	v_mul_f32_e32 v11, 0x2f800000, v10
	v_trunc_f32_e32 v11, v11
	v_madmk_f32 v10, v11, 0xcf800000, v10
	v_cvt_u32_f32_e32 v13, v10
	v_cvt_u32_f32_e32 v18, v11
	v_mul_lo_u32 v14, v17, v13
	v_mad_u64_u32 v[10:11], s[4:5], v16, v13, 0
	v_mul_lo_u32 v15, v16, v18
	v_add3_u32 v11, v11, v15, v14
	v_mad_u64_u32 v[14:15], s[4:5], v13, v11, 0
	v_mul_hi_u32 v19, v13, v10
	v_add_co_u32_e32 v19, vcc, v19, v14
	v_addc_co_u32_e32 v20, vcc, 0, v15, vcc
	v_mad_u64_u32 v[14:15], s[4:5], v18, v11, 0
	v_mad_u64_u32 v[10:11], s[4:5], v18, v10, 0
	v_add_co_u32_e32 v10, vcc, v19, v10
	v_addc_co_u32_e32 v10, vcc, v20, v11, vcc
	v_addc_co_u32_e32 v11, vcc, 0, v15, vcc
	v_add_co_u32_e32 v10, vcc, v10, v14
	v_addc_co_u32_e32 v11, vcc, 0, v11, vcc
	v_add_co_u32_e32 v13, vcc, v13, v10
	v_addc_co_u32_e32 v20, vcc, v18, v11, vcc
	v_mul_lo_u32 v14, v16, v20
	v_mul_lo_u32 v15, v17, v13
	v_mad_u64_u32 v[10:11], s[4:5], v16, v13, 0
	v_add3_u32 v11, v11, v14, v15
	v_mad_u64_u32 v[16:17], s[4:5], v20, v10, 0
	v_mad_u64_u32 v[18:19], s[4:5], v13, v11, 0
	v_mul_hi_u32 v10, v13, v10
	v_add_co_u32_e32 v10, vcc, v10, v18
	v_mad_u64_u32 v[14:15], s[4:5], v20, v11, 0
	v_addc_co_u32_e32 v11, vcc, 0, v19, vcc
	v_add_co_u32_e32 v10, vcc, v10, v16
	v_addc_co_u32_e32 v10, vcc, v11, v17, vcc
	v_addc_co_u32_e32 v11, vcc, 0, v15, vcc
	v_add_co_u32_e32 v10, vcc, v10, v14
	v_addc_co_u32_e32 v11, vcc, 0, v11, vcc
	v_add_co_u32_e32 v13, vcc, v13, v10
	v_addc_co_u32_e32 v14, vcc, v20, v11, vcc
	v_ashrrev_i32_e32 v16, 31, v29
	v_add_co_u32_e32 v10, vcc, v28, v16
	v_addc_co_u32_e32 v11, vcc, v29, v16, vcc
	v_xor_b32_e32 v18, v10, v16
	v_xor_b32_e32 v17, v11, v16
	v_mad_u64_u32 v[10:11], s[4:5], v18, v14, 0
	v_mul_hi_u32 v15, v18, v13
	v_add_co_u32_e32 v19, vcc, v15, v10
	v_addc_co_u32_e32 v20, vcc, 0, v11, vcc
	v_mad_u64_u32 v[10:11], s[4:5], v17, v14, 0
	v_mad_u64_u32 v[14:15], s[4:5], v17, v13, 0
	v_add_co_u32_e32 v13, vcc, v19, v14
	v_addc_co_u32_e32 v13, vcc, v20, v15, vcc
	v_addc_co_u32_e32 v11, vcc, 0, v11, vcc
	v_add_co_u32_e32 v13, vcc, v13, v10
	v_addc_co_u32_e32 v14, vcc, 0, v11, vcc
	v_mul_lo_u32 v15, v3, v13
	v_mul_lo_u32 v19, v9, v14
	v_mad_u64_u32 v[10:11], s[4:5], v9, v13, 0
	v_add3_u32 v11, v11, v19, v15
	v_sub_u32_e32 v15, v17, v11
	v_sub_co_u32_e32 v10, vcc, v18, v10
	v_subb_co_u32_e64 v15, s[4:5], v15, v3, vcc
	v_sub_co_u32_e64 v18, s[4:5], v10, v9
	v_subbrev_co_u32_e64 v15, s[4:5], 0, v15, s[4:5]
	v_cmp_ge_u32_e64 s[4:5], v15, v3
	v_cndmask_b32_e64 v19, 0, -1, s[4:5]
	v_cmp_ge_u32_e64 s[4:5], v18, v9
	v_cndmask_b32_e64 v18, 0, -1, s[4:5]
	v_cmp_eq_u32_e64 s[4:5], v15, v3
	v_cndmask_b32_e64 v15, v19, v18, s[4:5]
	v_add_co_u32_e64 v18, s[4:5], 2, v13
	v_subb_co_u32_e32 v11, vcc, v17, v11, vcc
	v_addc_co_u32_e64 v19, s[4:5], 0, v14, s[4:5]
	v_cmp_ge_u32_e32 vcc, v11, v3
	v_add_co_u32_e64 v20, s[4:5], 1, v13
	v_cndmask_b32_e64 v17, 0, -1, vcc
	v_cmp_ge_u32_e32 vcc, v10, v9
	v_addc_co_u32_e64 v21, s[4:5], 0, v14, s[4:5]
	v_cndmask_b32_e64 v9, 0, -1, vcc
	v_cmp_eq_u32_e32 vcc, v11, v3
	v_cmp_ne_u32_e64 s[4:5], 0, v15
	v_cndmask_b32_e32 v3, v17, v9, vcc
	v_cmp_ne_u32_e32 vcc, 0, v3
	v_cndmask_b32_e64 v9, v20, v18, s[4:5]
	v_cndmask_b32_e64 v15, v21, v19, s[4:5]
	v_cndmask_b32_e32 v9, v13, v9, vcc
	v_xor_b32_e32 v4, v16, v4
	v_cndmask_b32_e32 v3, v14, v15, vcc
	v_xor_b32_e32 v7, v16, v7
	v_xor_b32_e32 v9, v9, v4
	;; [unrolled: 1-line block ×3, first 2 shown]
	v_sub_co_u32_e32 v44, vcc, v9, v4
	v_subb_co_u32_e32 v45, vcc, v3, v7, vcc
.LBB4_14:
	s_andn2_saveexec_b64 s[4:5], s[6:7]
	s_cbranch_execz .LBB4_16
; %bb.15:
	v_cvt_f32_u32_e32 v3, v30
	v_sub_u32_e32 v4, 0, v30
	v_mov_b32_e32 v45, 0
	v_rcp_iflag_f32_e32 v3, v3
	v_mul_f32_e32 v3, 0x4f7ffffe, v3
	v_cvt_u32_f32_e32 v3, v3
	v_mul_lo_u32 v4, v4, v3
	v_mul_hi_u32 v4, v3, v4
	v_add_u32_e32 v3, v3, v4
	v_mul_hi_u32 v3, v28, v3
	v_mul_lo_u32 v4, v3, v30
	v_sub_u32_e32 v4, v28, v4
	v_add_u32_e32 v7, 1, v3
	v_sub_u32_e32 v9, v4, v30
	v_cmp_ge_u32_e32 vcc, v4, v30
	v_cndmask_b32_e32 v4, v4, v9, vcc
	v_cndmask_b32_e32 v3, v3, v7, vcc
	v_add_u32_e32 v7, 1, v3
	v_cmp_ge_u32_e32 vcc, v4, v30
	v_cndmask_b32_e32 v44, v3, v7, vcc
.LBB4_16:
	s_or_b64 exec, exec, s[4:5]
	s_trap 2
	ds_read_b64 v[10:11], v0
	v_mul_lo_u32 v3, v5, v8
	v_sub_u32_e32 v3, v12, v3
	v_sub_u32_e32 v4, v3, v8
	v_cmp_ge_u32_e64 s[4:5], v3, v8
	s_waitcnt lgkmcnt(0)
	v_cmp_ne_u32_e32 vcc, -1, v10
	v_cndmask_b32_e64 v13, 0, 1, vcc
	v_cmp_ne_u32_e32 vcc, -1, v11
	v_cndmask_b32_e64 v3, v3, v4, s[4:5]
	v_addc_co_u32_e64 v4, s[10:11], 0, v13, vcc
	v_cmp_ge_u32_e64 s[6:7], v3, v8
	v_lshlrev_b32_e32 v3, 1, v4
	v_accvgpr_read_b32 v7, a0
	v_cmp_le_i32_e64 s[10:11], v3, v7
	s_and_saveexec_b64 s[14:15], s[10:11]
	s_xor_b64 s[24:25], exec, s[14:15]
	s_cbranch_execz .LBB4_652
; %bb.17:
	flat_load_dwordx4 v[8:11], v[38:39] offset:16
	s_trap 2
	s_load_dword s10, s[8:9], 0x0
	v_mov_b32_e32 v3, 0
	v_sub_u32_e32 v7, 0, v1
	v_add_u32_e32 v15, 1, v5
	v_cndmask_b32_e64 v5, v5, v15, s[4:5]
	s_waitcnt lgkmcnt(0)
	s_cmp_lt_u32 s12, s10
	s_cselect_b32 s10, 12, 18
	s_add_u32 s10, s8, s10
	s_addc_u32 s11, s9, 0
	global_load_ushort a6, v3, s[10:11]
	v_cvt_f32_u32_e32 v3, v1
	v_ashrrev_i32_e32 v14, 31, v2
	v_add_u32_e32 v15, 1, v5
	v_cndmask_b32_e64 v5, v5, v15, s[6:7]
	v_rcp_iflag_f32_e32 v3, v3
	ds_read_b32 v16, v0
	v_accvgpr_write_b32 a1, v31
	v_cmp_ge_i32_e64 s[4:5], v0, v13
	v_mul_f32_e32 v3, 0x4f7ffffe, v3
	v_cvt_u32_f32_e32 v3, v3
	s_waitcnt lgkmcnt(0)
	v_readfirstlane_b32 s14, v16
	v_mov_b32_e32 v55, 4
	v_mul_lo_u32 v7, v7, v3
	v_mul_hi_u32 v7, v3, v7
	v_add_u32_e32 v3, v3, v7
	v_bfe_i32 v7, v1, 30, 1
	v_xor_b32_e32 v7, v14, v7
	v_xor_b32_e32 v5, v5, v7
	v_sub_u32_e32 v15, v5, v7
	v_mul_lo_u32 v5, v15, v6
	v_sub_u32_e32 v24, v2, v5
	v_sub_u32_e32 v2, 0, v24
	s_and_saveexec_b64 s[6:7], s[4:5]
	s_cbranch_execz .LBB4_27
; %bb.18:
	v_cmp_le_u32_e64 s[4:5], v4, v0
                                        ; implicit-def: $vgpr55
	s_and_saveexec_b64 s[10:11], s[4:5]
	s_xor_b64 s[4:5], exec, s[10:11]
	s_cbranch_execz .LBB4_24
; %bb.19:
	v_cndmask_b32_e64 v5, 0, 1, vcc
	v_accvgpr_read_b32 v6, a0
	v_sub_u32_e32 v5, v6, v5
	v_cmp_ge_u32_e32 vcc, v0, v5
                                        ; implicit-def: $sgpr12
	s_and_saveexec_b64 s[10:11], vcc
	s_xor_b64 s[10:11], exec, s[10:11]
; %bb.20:
	s_mov_b32 s12, 16
                                        ; implicit-def: $vgpr4
; %bb.21:
	s_or_saveexec_b64 s[10:11], s[10:11]
	v_mov_b32_e32 v55, s12
	s_xor_b64 exec, exec, s[10:11]
; %bb.22:
	v_accvgpr_read_b32 v5, a0
	v_sub_u32_e32 v4, v5, v4
	v_cmp_ge_i32_e32 vcc, v0, v4
	v_cndmask_b32_e64 v4, 0, 1, vcc
	v_lshlrev_b32_e32 v55, 5, v4
; %bb.23:
	s_or_b64 exec, exec, s[10:11]
.LBB4_24:
	s_andn2_saveexec_b64 s[4:5], s[4:5]
; %bb.25:
	v_mov_b32_e32 v55, 8
; %bb.26:
	s_or_b64 exec, exec, s[4:5]
.LBB4_27:
	s_or_b64 exec, exec, s[6:7]
	v_max_i32_e32 v29, v24, v2
	v_and_b32_e32 v2, 36, v55
	v_cmp_ne_u32_e32 vcc, 0, v2
	v_mov_b32_e32 v6, -1
	s_and_saveexec_b64 s[4:5], vcc
	s_cbranch_execz .LBB4_29
; %bb.28:
	s_trap 2
	ds_read_b32 v6, v0
.LBB4_29:
	s_or_b64 exec, exec, s[4:5]
	v_mad_u64_u32 v[32:33], s[4:5], v12, v3, 0
	v_mad_u64_u32 v[20:21], s[4:5], v29, v3, 0
	v_and_b32_e32 v2, 24, v55
	v_cmp_ne_u32_e64 s[4:5], 0, v2
	s_and_saveexec_b64 s[6:7], s[4:5]
	s_cbranch_execz .LBB4_31
; %bb.30:
	s_trap 2
	s_waitcnt lgkmcnt(0)
	ds_read_b32 v6, v0
.LBB4_31:
	s_or_b64 exec, exec, s[6:7]
	v_pk_mov_b32 v[2:3], 0, 0
	v_accvgpr_write_b32 a11, v3
	s_waitcnt lgkmcnt(0)
	v_ashrrev_i32_e32 v7, 31, v6
	v_accvgpr_write_b32 a10, v2
	v_pk_mov_b32 v[4:5], v[2:3], v[2:3] op_sel:[0,1]
                                        ; implicit-def: $agpr8_agpr9
                                        ; implicit-def: $vgpr20
                                        ; implicit-def: $vgpr26_vgpr27
                                        ; implicit-def: $vgpr16_vgpr17
                                        ; implicit-def: $vgpr22_vgpr23
                                        ; implicit-def: $vgpr18_vgpr19
	s_and_saveexec_b64 s[4:5], vcc
	s_cbranch_execz .LBB4_41
; %bb.32:
	s_trap 2
	ds_read_b64 v[2:3], v0
	v_lshlrev_b64 v[4:5], 3, v[6:7]
                                        ; implicit-def: $agpr8_agpr9
	s_waitcnt lgkmcnt(0)
	v_add_co_u32_e32 v2, vcc, v2, v4
	v_addc_co_u32_e32 v3, vcc, v3, v5, vcc
	flat_load_dwordx2 v[2:3], v[2:3]
	s_waitcnt vmcnt(0) lgkmcnt(0)
	flat_load_dword v4, v[2:3] offset:640
	s_waitcnt vmcnt(0) lgkmcnt(0)
	v_cmp_eq_u32_e32 vcc, 1, v4
	s_and_saveexec_b64 s[6:7], vcc
	s_cbranch_execz .LBB4_34
; %bb.33:
	flat_load_dwordx2 v[16:17], v[2:3] offset:648
	v_or_b32_e32 v55, 0x2000, v55
	s_waitcnt vmcnt(0) lgkmcnt(0)
	flat_load_dwordx2 v[4:5], v[16:17]
	s_trap 2
	v_accvgpr_write_b32 a8, v16
	v_accvgpr_write_b32 a9, v17
	s_waitcnt vmcnt(0) lgkmcnt(0)
	ds_write_b64 v0, v[4:5]
	flat_load_dwordx2 v[4:5], v[16:17] offset:8
	s_waitcnt vmcnt(0) lgkmcnt(0)
	ds_write_b64 v0, v[4:5]
	flat_load_dwordx2 v[4:5], v[16:17] offset:16
	s_waitcnt vmcnt(0) lgkmcnt(0)
	ds_write_b64 v0, v[4:5]
.LBB4_34:
	s_or_b64 exec, exec, s[6:7]
	flat_load_dwordx2 v[4:5], v[2:3] offset:608
	v_and_b32_e32 v18, 32, v55
	s_waitcnt vmcnt(0) lgkmcnt(0)
	v_add_co_u32_e32 v4, vcc, 3, v4
	v_addc_co_u32_e32 v17, vcc, 0, v5, vcc
	v_and_b32_e32 v16, -4, v4
	v_cmp_ne_u32_e32 vcc, 0, v18
                                        ; implicit-def: $vgpr18_vgpr19
	s_and_saveexec_b64 s[6:7], vcc
	s_cbranch_execz .LBB4_36
; %bb.35:
	flat_load_dwordx2 v[18:19], v[2:3] offset:560
	s_waitcnt vmcnt(0) lgkmcnt(0)
	flat_store_dwordx2 v[18:19], v[16:17]
.LBB4_36:
	s_or_b64 exec, exec, s[6:7]
	v_add_co_u32_e32 v4, vcc, 0x1f8, v2
	v_addc_co_u32_e32 v5, vcc, 0, v3, vcc
	v_accvgpr_write_b32 a11, v5
	v_accvgpr_write_b32 a10, v4
	v_and_b32_e32 v4, 4, v55
	v_cmp_ne_u32_e32 vcc, 0, v4
	v_pk_mov_b32 v[4:5], 0, 0
                                        ; implicit-def: $vgpr20
                                        ; implicit-def: $vgpr26_vgpr27
                                        ; implicit-def: $vgpr22_vgpr23
	s_and_saveexec_b64 s[6:7], vcc
	s_cbranch_execz .LBB4_40
; %bb.37:
	v_and_b32_e32 v4, 0x800, v55
	v_cmp_eq_u32_e32 vcc, 0, v4
	s_and_saveexec_b64 s[10:11], vcc
	s_cbranch_execz .LBB4_39
; %bb.38:
	s_trap 2
	ds_write_b64 v0, a[10:11]
.LBB4_39:
	s_or_b64 exec, exec, s[10:11]
	flat_load_dwordx2 v[18:19], v[2:3] offset:552
	s_waitcnt vmcnt(0) lgkmcnt(0)
	flat_load_dwordx2 v[26:27], v[18:19] glc
	flat_load_dwordx2 v[4:5], v[2:3] offset:600
	flat_load_dword v20, v[2:3] offset:576
	flat_load_dwordx2 v[22:23], v[2:3] offset:520
	v_or_b32_e32 v2, 0x100, v55
	s_waitcnt vmcnt(0) lgkmcnt(0)
	v_cmp_eq_u64_e32 vcc, 0, v[4:5]
	v_cndmask_b32_e32 v55, v2, v55, vcc
.LBB4_40:
	s_or_b64 exec, exec, s[6:7]
.LBB4_41:
	s_or_b64 exec, exec, s[4:5]
	v_and_b32_e32 v3, 24, v55
	v_ashrrev_i32_e32 v2, 31, v24
	v_cmp_ne_u32_e32 vcc, 0, v3
                                        ; implicit-def: $vgpr24_vgpr25
	s_and_saveexec_b64 s[4:5], vcc
	s_cbranch_execz .LBB4_49
; %bb.42:
	s_trap 2
	ds_read_b64 v[4:5], v0
	v_lshlrev_b64 v[6:7], 3, v[6:7]
	v_or_b32_e32 v3, 0x100, v55
                                        ; implicit-def: $vgpr24_vgpr25
	s_waitcnt lgkmcnt(0)
	v_add_co_u32_e32 v4, vcc, v4, v6
	v_addc_co_u32_e32 v5, vcc, v5, v7, vcc
	flat_load_dwordx2 v[4:5], v[4:5]
	s_waitcnt vmcnt(0) lgkmcnt(0)
	v_accvgpr_write_b32 a11, v5
	v_accvgpr_write_b32 a10, v4
	flat_load_dwordx4 v[4:7], v[4:5] offset:96
	s_waitcnt vmcnt(0) lgkmcnt(0)
	v_cmp_eq_u64_e32 vcc, 0, v[4:5]
	v_cndmask_b32_e32 v55, v3, v55, vcc
	v_and_b32_e32 v3, 16, v55
	v_cmp_ne_u32_e32 vcc, 0, v3
	s_and_saveexec_b64 s[6:7], vcc
	s_cbranch_execz .LBB4_44
; %bb.43:
	v_accvgpr_read_b32 v17, a11
	v_accvgpr_read_b32 v16, a10
	flat_load_dwordx2 v[24:25], v[16:17] offset:120
	flat_load_dwordx2 v[18:19], v[16:17] offset:48
	;; [unrolled: 1-line block ×3, first 2 shown]
.LBB4_44:
	s_or_b64 exec, exec, s[6:7]
	v_add_co_u32_e32 v3, vcc, 3, v6
	v_addc_co_u32_e32 v17, vcc, 0, v7, vcc
	v_and_b32_e32 v16, -4, v3
	v_and_b32_e32 v3, 8, v55
	v_cmp_ne_u32_e32 vcc, 0, v3
	s_and_saveexec_b64 s[6:7], vcc
	s_cbranch_execz .LBB4_48
; %bb.45:
	v_and_b32_e32 v3, 0x800, v55
	v_cmp_eq_u32_e32 vcc, 0, v3
	s_and_saveexec_b64 s[10:11], vcc
	s_cbranch_execz .LBB4_47
; %bb.46:
	v_accvgpr_read_b32 v6, a10
	s_trap 2
	v_accvgpr_read_b32 v7, a11
	ds_write_b64 v0, a[10:11]
.LBB4_47:
	s_or_b64 exec, exec, s[10:11]
	v_accvgpr_read_b32 v6, a10
	v_accvgpr_read_b32 v7, a11
	s_waitcnt vmcnt(0) lgkmcnt(0)
	flat_load_dwordx2 v[18:19], v[6:7] offset:56
	s_waitcnt vmcnt(0) lgkmcnt(0)
	flat_load_dwordx2 v[26:27], v[18:19] glc
	flat_load_dword v20, v[6:7] offset:72
	flat_load_dwordx2 v[22:23], v[6:7] offset:16
.LBB4_48:
	s_or_b64 exec, exec, s[6:7]
.LBB4_49:
	s_or_b64 exec, exec, s[4:5]
	v_cmp_eq_u32_e64 s[4:5], 0, v0
	s_and_saveexec_b64 s[6:7], s[4:5]
	s_cbranch_execz .LBB4_51
; %bb.50:
	s_waitcnt vmcnt(0)
	v_mov_b32_e32 v6, v10
	v_mov_b32_e32 v7, v11
	ds_write2_b64 v0, v[6:7], v[8:9] offset1:1
	v_mov_b32_e32 v6, 0
	v_mov_b32_e32 v7, v6
	s_trap 2
	ds_write_b64 v0, v[6:7]
.LBB4_51:
	s_or_b64 exec, exec, s[6:7]
	v_accvgpr_read_b32 v31, a0
	s_cmp_lt_i32 s66, -1
	s_waitcnt vmcnt(0)
	v_pk_mov_b32 v[10:11], 0, 0
	v_cmp_ne_u32_e64 s[6:7], 64, v31
	s_cbranch_scc1 .LBB4_616
; %bb.52:
	v_mul_lo_u32 v3, v33, v1
	v_sub_u32_e32 v3, v12, v3
	v_cmp_ge_u32_e32 vcc, v3, v1
	v_sub_u32_e32 v6, v3, v1
	v_cndmask_b32_e32 v3, v3, v6, vcc
	v_cmp_ge_u32_e32 vcc, v3, v1
	v_sub_u32_e32 v6, v3, v1
	v_cndmask_b32_e32 v3, v3, v6, vcc
	v_xor_b32_e32 v3, v3, v14
	v_sub_u32_e32 v6, v3, v14
	v_mad_u64_u32 v[8:9], s[10:11], v44, v30, 0
	v_mad_u64_u32 v[6:7], s[10:11], v15, v1, v[6:7]
	v_sub_co_u32_e32 v8, vcc, v28, v8
	v_min_i32_e32 v10, v6, v8
	v_ashrrev_i32_e32 v7, 31, v6
	v_ashrrev_i32_e32 v11, 31, v10
	v_mad_u64_u32 v[14:15], s[10:11], v44, v6, v[10:11]
	v_mul_lo_u32 v10, v44, v7
	v_mul_lo_u32 v11, v45, v6
	v_add3_u32 v3, v11, v15, v10
	v_cmp_lt_i32_e32 vcc, v6, v8
	v_mul_lo_u32 v3, v3, v42
	v_mul_lo_u32 v9, v14, v37
	v_mad_u64_u32 v[14:15], s[10:11], v14, v42, 0
	v_add3_u32 v15, v15, v9, v3
	v_cndmask_b32_e64 v3, 0, 1, vcc
	v_add_co_u32_e32 v9, vcc, v44, v3
	v_addc_co_u32_e32 v3, vcc, 0, v45, vcc
	v_mul_lo_u32 v12, v3, v42
	v_mul_lo_u32 v3, v21, v1
	v_accvgpr_write_b32 a12, v14
	v_sub_u32_e32 v3, v29, v3
	v_accvgpr_write_b32 a13, v15
	v_cmp_ge_u32_e32 vcc, v3, v1
	v_add_u32_e32 v14, 1, v21
	v_sub_u32_e32 v15, v3, v1
	v_cndmask_b32_e32 v14, v21, v14, vcc
	v_cndmask_b32_e32 v3, v3, v15, vcc
	v_cmp_ge_u32_e32 vcc, v3, v1
	v_add_u32_e32 v1, 1, v14
	v_cndmask_b32_e32 v1, v14, v1, vcc
	v_mov_b32_e32 v36, 0
	v_xor_b32_e32 v1, v1, v2
	v_mov_b32_e32 v3, v36
	v_mul_lo_u32 v28, v9, v37
	v_mad_u64_u32 v[32:33], s[10:11], v9, v42, 0
	v_sub_u32_e32 v1, v1, v2
	v_and_b32_e32 v2, 0x3ffffe00, v34
	v_accvgpr_write_b32 a17, v3
	v_add3_u32 v33, v33, v28, v12
	v_accvgpr_write_b32 a16, v2
	v_ashrrev_i32_e32 v2, 31, v1
	v_mul_lo_u32 v14, v33, v1
	v_mul_lo_u32 v15, v32, v2
	v_mul_hi_u32 v2, v32, v1
	s_lshr_b32 s10, s66, 31
	v_add3_u32 v2, v2, v15, v14
	s_add_i32 s10, s66, s10
	v_lshrrev_b32_e32 v2, 31, v2
	s_ashr_i32 s67, s10, 1
	v_mad_u64_u32 v[2:3], s[10:11], v32, v1, v[2:3]
	v_add3_u32 v3, v14, v3, v15
	v_ashrrev_i64 v[2:3], 1, v[2:3]
	v_accvgpr_write_b32 a19, v3
	v_accvgpr_write_b32 a18, v2
	v_lshrrev_b32_e32 v2, 31, v33
	v_mov_b32_e32 v3, v36
	v_mad_u64_u32 v[2:3], s[10:11], v9, v42, v[2:3]
	v_add3_u32 v3, v12, v3, v28
	v_ashrrev_i64 v[14:15], 1, v[2:3]
	v_sub_co_u32_e64 v2, s[10:11], 0, v14
	v_accvgpr_write_b32 a14, v32
	v_subb_co_u32_e64 v3, s[10:11], 0, v15, s[10:11]
	v_accvgpr_write_b32 a15, v33
	v_mad_u64_u32 v[32:33], s[10:11], v9, v42, v[2:3]
	v_ashrrev_i32_e32 v2, 31, v0
	v_cmp_eq_u32_e32 vcc, 0, v1
	v_add3_u32 v1, v12, v33, v28
	v_lshrrev_b32_e32 v2, 26, v2
	v_add_u32_e32 v2, v0, v2
	v_cndmask_b32_e32 v1, v1, v15, vcc
	s_abs_i32 s69, s66
	v_ashrrev_i32_e32 v56, 6, v2
	v_and_b32_e32 v2, 0xffffffc0, v2
	v_accvgpr_write_b32 a25, v1
	v_cvt_f32_u32_e32 v1, s69
	v_sub_u32_e32 v33, v0, v2
	v_lshlrev_b32_e32 v3, 4, v33
	v_lshl_add_u32 v2, v56, 11, v3
	v_ashrrev_i32_e32 v3, 31, v2
	v_rcp_iflag_f32_e32 v1, v1
	v_accvgpr_write_b32 a21, v3
	v_accvgpr_write_b32 a20, v2
	v_lshrrev_b32_e32 v30, 6, v31
	v_mov_b32_e32 v3, 0xfffff800
	v_lshl_add_u32 v3, v30, 11, v3
	s_movk_i32 s12, 0x800
	v_ashrrev_i32_e32 v9, 31, v3
	v_add_co_u32_e64 v3, s[12:13], s12, v3
	v_mul_f32_e32 v1, 0x4f7ffffe, v1
	v_addc_co_u32_e64 v28, s[12:13], 0, v9, s[12:13]
	v_lshlrev_b32_e32 v52, 10, v30
	v_cvt_u32_f32_e32 v1, v1
	v_add_u32_e32 v9, 0xfffffc00, v52
	s_movk_i32 s12, 0x400
	v_ashrrev_i32_e32 v12, 31, v9
	v_add_co_u32_e64 v29, s[12:13], s12, v9
	v_accvgpr_read_b32 v2, a1
	v_addc_co_u32_e64 v62, s[12:13], 0, v12, s[12:13]
	v_and_b32_e32 v9, 63, v2
	v_accvgpr_read_b32 v2, a6
	s_ashr_i32 s12, s14, 31
	v_cmp_ne_u32_sdwa s[28:29], v2, v31 src0_sel:WORD_0 src1_sel:DWORD
	v_cndmask_b32_e32 v2, v32, v14, vcc
	s_sub_i32 s26, 0, s69
	v_readfirstlane_b32 vcc_lo, v1
	s_lshr_b32 s12, s12, 25
	s_mul_i32 s26, s26, vcc_lo
	s_add_i32 s14, s14, s12
	v_cmp_eq_u32_e64 s[12:13], 0, v9
	s_mul_hi_u32 s26, vcc_lo, s26
	v_ashrrev_i32_e32 v9, 31, v8
	s_add_i32 s70, vcc_lo, s26
	v_cmp_lt_i64_e32 vcc, v[6:7], v[8:9]
	v_cndmask_b32_e32 v9, v9, v7, vcc
	v_cndmask_b32_e32 v8, v8, v6, vcc
	v_mad_u64_u32 v[6:7], vcc, v44, v6, v[8:9]
	v_add3_u32 v1, v11, v7, v10
	v_mul_lo_u32 v7, v6, v37
	v_mul_lo_u32 v1, v1, v42
	v_mad_u64_u32 v[8:9], vcc, v6, v42, 0
	v_add3_u32 v9, v9, v7, v1
	v_accvgpr_write_b32 a2, v38
	s_mov_b32 s27, 0
	v_and_b32_e32 v54, 0xffffffc0, v31
	v_cmp_ge_i32_e64 s[22:23], v0, v31
	s_waitcnt lgkmcnt(0)
	v_ashrrev_i32_e32 v53, 31, v20
	v_accvgpr_write_b32 a27, v9
	v_accvgpr_write_b32 a3, v39
	v_cmp_gt_i32_e64 s[10:11], 1, v33
	v_ashrrev_i32_e32 v57, 31, v56
	v_ashrrev_i32_e32 v21, 31, v54
	s_ashr_i32 s68, s14, 7
	v_cmp_eq_u32_e64 s[14:15], 64, v31
	v_accvgpr_write_b32 a7, v33
	v_cmp_lt_i32_e64 s[16:17], v33, v13
	v_cmp_eq_u64_e64 s[18:19], 0, v[24:25]
	v_cmp_ne_u64_e64 s[20:21], 0, v[24:25]
	v_accvgpr_write_b32 a22, v2
	v_accvgpr_write_b32 a26, v8
	v_pk_mov_b32 v[10:11], 0, 0
	s_xor_b64 s[30:31], s[22:23], -1
	s_movk_i32 s71, 0x270e
	v_mov_b32_e32 v31, 1
	s_movk_i32 s72, 0x108
	s_mov_b32 s26, s27
	v_accvgpr_write_b32 a5, v35
	v_accvgpr_write_b32 a23, v53
	s_trap 2
.LBB4_53:                               ; =>This Loop Header: Depth=1
                                        ;     Child Loop BB4_62 Depth 2
                                        ;     Child Loop BB4_69 Depth 2
	;; [unrolled: 1-line block ×5, first 2 shown]
                                        ;       Child Loop BB4_96 Depth 3
                                        ;         Child Loop BB4_104 Depth 4
                                        ;         Child Loop BB4_128 Depth 4
	;; [unrolled: 1-line block ×8, first 2 shown]
                                        ;       Child Loop BB4_216 Depth 3
                                        ;         Child Loop BB4_222 Depth 4
                                        ;         Child Loop BB4_246 Depth 4
                                        ;       Child Loop BB4_266 Depth 3
                                        ;         Child Loop BB4_269 Depth 4
                                        ;           Child Loop BB4_277 Depth 5
                                        ;           Child Loop BB4_305 Depth 5
	;; [unrolled: 1-line block ×8, first 2 shown]
                                        ;         Child Loop BB4_394 Depth 4
                                        ;           Child Loop BB4_400 Depth 5
                                        ;           Child Loop BB4_428 Depth 5
                                        ;       Child Loop BB4_448 Depth 3
                                        ;         Child Loop BB4_458 Depth 4
                                        ;         Child Loop BB4_480 Depth 4
	;; [unrolled: 1-line block ×8, first 2 shown]
                                        ;       Child Loop BB4_567 Depth 3
                                        ;         Child Loop BB4_573 Depth 4
                                        ;         Child Loop BB4_597 Depth 4
	s_sub_i32 s22, s66, s26
	s_ashr_i32 s23, s22, 31
	s_abs_i32 s22, s22
	s_mul_hi_u32 vcc_lo, s22, s70
	s_mul_i32 vcc_lo, vcc_lo, s69
	s_sub_i32 s22, s22, vcc_lo
	s_sub_i32 vcc_lo, s22, s69
	s_cmp_ge_u32 s22, s69
	s_cselect_b32 s22, vcc_lo, s22
	s_trap 2
	ds_read_b64 v[6:7], v0
	s_sub_i32 vcc_lo, s22, s69
	s_cmp_ge_u32 s22, s69
	s_cselect_b32 s22, vcc_lo, s22
	s_xor_b32 s22, s22, s23
	s_sub_i32 s22, s22, s23
	s_lshl_b64 vcc, s[26:27], 2
	s_ashr_i32 s23, s22, 31
	v_mov_b32_e32 v9, vcc_hi
	s_waitcnt lgkmcnt(0)
	v_add_co_u32_e32 v8, vcc, vcc_lo, v6
	s_lshl_b64 s[22:23], s[22:23], 2
	v_addc_co_u32_e32 v9, vcc, v7, v9, vcc
	v_mov_b32_e32 v1, s23
	v_add_co_u32_e32 v6, vcc, s22, v6
	flat_load_dword v13, v[8:9]
	v_addc_co_u32_e32 v7, vcc, v7, v1, vcc
	flat_load_dword v12, v[6:7]
	v_accvgpr_read_b32 v8, a12
	v_accvgpr_read_b32 v2, a4
	;; [unrolled: 1-line block ×5, first 2 shown]
	s_cmp_lg_u32 s26, 0
	s_cselect_b64 s[36:37], -1, 0
	s_and_b64 vcc, exec, s[36:37]
	s_waitcnt vmcnt(0) lgkmcnt(0)
	v_mad_u64_u32 v[6:7], s[22:23], v2, v13, v[8:9]
	v_ashrrev_i32_e32 v1, 31, v13
	v_cmp_eq_u32_e64 s[22:23], v12, v13
	v_cndmask_b32_e64 v37, 0, v39, s[22:23]
	v_ashrrev_i32_e32 v32, 31, v12
	v_cndmask_b32_e64 v46, 0, v38, s[22:23]
	v_accvgpr_read_b32 v39, a15
	v_mul_lo_u32 v14, v35, v13
	v_mad_u64_u32 v[8:9], s[34:35], v2, v12, v[8:9]
	v_mul_lo_u32 v33, v2, v1
	v_mul_lo_u32 v32, v2, v32
	v_accvgpr_read_b32 v38, a14
	v_accvgpr_read_b32 v1, a25
	;; [unrolled: 1-line block ×3, first 2 shown]
	v_cndmask_b32_e64 v39, v39, v1, s[22:23]
	v_cndmask_b32_e64 v38, v38, v2, s[22:23]
	v_add3_u32 v7, v14, v7, v33
	v_add_co_u32_e64 v1, s[22:23], v6, v46
	v_mul_lo_u32 v15, v35, v12
	v_accvgpr_write_b32 a24, v1
	v_addc_co_u32_e64 v1, s[22:23], v7, v37, s[22:23]
	v_add3_u32 v9, v15, v9, v32
	v_accvgpr_write_b32 a30, v1
	v_add_co_u32_e64 v1, s[22:23], v8, v46
	v_accvgpr_write_b32 a31, v1
	v_addc_co_u32_e64 v1, s[22:23], v9, v37, s[22:23]
	v_accvgpr_write_b32 a28, v38
	v_accvgpr_write_b32 a32, v1
	;; [unrolled: 1-line block ×3, first 2 shown]
	s_cbranch_vccz .LBB4_55
; %bb.54:                               ;   in Loop: Header=BB4_53 Depth=1
	v_accvgpr_read_b32 v6, a16
	v_accvgpr_read_b32 v7, a17
	s_and_saveexec_b64 s[34:35], s[36:37]
	s_cbranch_execnz .LBB4_86
	s_branch .LBB4_614
.LBB4_55:                               ;   in Loop: Header=BB4_53 Depth=1
	v_accvgpr_read_b32 v7, a3
	v_accvgpr_read_b32 v6, a2
	flat_load_dwordx4 v[42:45], v[6:7] offset:16
	s_mov_b64 s[36:37], -1
	s_waitcnt vmcnt(0) lgkmcnt(0)
	v_cmp_ne_u64_e32 vcc, v[44:45], v[42:43]
	s_mov_b64 s[22:23], exec
	v_accvgpr_read_b32 v6, a16
	v_accvgpr_read_b32 v8, a20
	s_and_b64 vcc, s[22:23], vcc
	v_accvgpr_read_b32 v7, a17
	v_accvgpr_read_b32 v9, a21
	s_mov_b64 exec, vcc
	s_cbranch_execz .LBB4_85
; %bb.56:                               ;   in Loop: Header=BB4_53 Depth=1
	s_mov_b64 vcc, -1
	s_and_saveexec_b64 s[34:35], s[10:11]
	s_cbranch_execz .LBB4_58
; %bb.57:                               ;   in Loop: Header=BB4_53 Depth=1
	v_accvgpr_read_b32 v1, a24
	v_add_u32_e32 v38, v44, v1
	v_accvgpr_read_b32 v1, a31
	v_add_u32_e32 v39, v42, v1
	v_or_b32_e32 v38, v38, v39
	v_and_b32_e32 v38, 15, v38
	v_cmp_eq_u32_e32 vcc, 0, v38
	v_accvgpr_read_b32 v39, a29
	v_accvgpr_read_b32 v6, a16
	;; [unrolled: 1-line block ×4, first 2 shown]
	s_orn2_b64 vcc, vcc, exec
.LBB4_58:                               ;   in Loop: Header=BB4_53 Depth=1
	s_or_b64 exec, exec, s[34:35]
	v_accvgpr_read_b32 v1, a4
	s_xor_b64 vcc, vcc, -1
	v_mad_u64_u32 v[50:51], s[34:35], v1, v13, 0
	v_mad_u64_u32 v[34:35], s[34:35], v1, v12, 0
	v_cndmask_b32_e64 v12, 0, 1, vcc
	v_add3_u32 v47, v51, v33, v14
	v_add3_u32 v2, v35, v32, v15
	;;#ASMSTART
	;;#ASMEND
	v_cmp_ne_u32_e32 vcc, 0, v12
	s_cbranch_vccz .LBB4_60
; %bb.59:                               ;   in Loop: Header=BB4_53 Depth=1
	v_pk_mov_b32 v[8:9], 0, 0
	v_pk_mov_b32 v[60:61], v[38:39], v[38:39] op_sel:[0,1]
	v_mov_b32_e32 v1, v0
	v_mov_b32_e32 v40, v56
	v_pk_mov_b32 v[32:33], v[56:57], v[56:57] op_sel:[0,1]
	s_and_saveexec_b64 s[34:35], s[36:37]
	s_cbranch_execnz .LBB4_75
	s_branch .LBB4_84
.LBB4_60:                               ;   in Loop: Header=BB4_53 Depth=1
	v_ashrrev_i32_e32 v12, 31, v39
	v_lshrrev_b32_e32 v12, 21, v12
	v_add_co_u32_e32 v12, vcc, v38, v12
	v_addc_co_u32_e32 v13, vcc, 0, v39, vcc
	v_ashrrev_i64 v[12:13], 11, v[12:13]
	v_sub_co_u32_e32 v14, vcc, v12, v56
	v_subb_co_u32_e32 v15, vcc, v13, v57, vcc
	v_cmp_lt_i64_e32 vcc, 0, v[14:15]
	s_and_saveexec_b64 s[34:35], vcc
	s_cbranch_execz .LBB4_64
; %bb.61:                               ;   in Loop: Header=BB4_53 Depth=1
	v_accvgpr_read_b32 v6, a26
	v_accvgpr_read_b32 v7, a27
	v_add_co_u32_e32 v38, vcc, v6, v46
	v_addc_co_u32_e32 v39, vcc, v7, v37, vcc
	v_add_co_u32_e32 v32, vcc, v38, v44
	v_addc_co_u32_e32 v33, vcc, v39, v45, vcc
	;; [unrolled: 2-line block ×4, first 2 shown]
	v_accvgpr_write_b32 a34, v42
	v_add_co_u32_e32 v38, vcc, v38, v34
	v_accvgpr_write_b32 a35, v43
	v_accvgpr_write_b32 a36, v44
	;; [unrolled: 1-line block ×3, first 2 shown]
	v_addc_co_u32_e32 v39, vcc, v39, v2, vcc
	s_mov_b64 s[36:37], 0
.LBB4_62:                               ;   Parent Loop BB4_53 Depth=1
                                        ; =>  This Inner Loop Header: Depth=2
	v_add_co_u32_e32 v48, vcc, v8, v32
	v_addc_co_u32_e32 v49, vcc, v9, v33, vcc
	global_load_dwordx4 v[40:43], v[48:49], off glc slc
	global_load_dwordx4 v[58:61], v[48:49], off offset:1024 glc slc
	v_add_co_u32_e32 v48, vcc, v8, v38
	v_addc_co_u32_e32 v49, vcc, v9, v39, vcc
	v_sub_co_u32_e32 v14, vcc, v14, v30
	v_subbrev_co_u32_e32 v15, vcc, 0, v15, vcc
	v_add_co_u32_e32 v32, vcc, v32, v3
	v_addc_co_u32_e32 v33, vcc, v33, v28, vcc
	v_add_co_u32_e32 v38, vcc, v38, v3
	v_addc_co_u32_e32 v39, vcc, v39, v28, vcc
	v_cmp_gt_i64_e32 vcc, 1, v[14:15]
	s_or_b64 s[36:37], vcc, s[36:37]
	s_waitcnt vmcnt(1)
	global_store_dwordx4 v[48:49], v[40:43], off glc slc
	s_waitcnt vmcnt(1)
	global_store_dwordx4 v[48:49], v[58:61], off offset:1024 glc slc
	s_andn2_b64 exec, exec, s[36:37]
	s_cbranch_execnz .LBB4_62
; %bb.63:                               ;   in Loop: Header=BB4_53 Depth=1
	s_or_b64 exec, exec, s[36:37]
	v_accvgpr_read_b32 v45, a37
	v_accvgpr_read_b32 v44, a36
	v_accvgpr_read_b32 v43, a35
	v_accvgpr_read_b32 v42, a34
.LBB4_64:                               ;   in Loop: Header=BB4_53 Depth=1
	s_or_b64 exec, exec, s[34:35]
	v_accvgpr_read_b32 v6, a28
	v_lshlrev_b64 v[38:39], 11, v[12:13]
	v_accvgpr_read_b32 v7, a29
	v_cmp_ne_u64_e32 vcc, v[6:7], v[38:39]
	s_mov_b64 s[36:37], 0
	v_pk_mov_b32 v[8:9], 0, 0
                                        ; implicit-def: $vgpr60_vgpr61
                                        ; implicit-def: $vgpr1
                                        ; implicit-def: $vgpr40
                                        ; implicit-def: $vgpr32_vgpr33
	s_and_saveexec_b64 s[34:35], vcc
	s_cbranch_execz .LBB4_74
; %bb.65:                               ;   in Loop: Header=BB4_53 Depth=1
	v_accvgpr_read_b32 v6, a28
	v_accvgpr_read_b32 v7, a29
	v_sub_co_u32_e32 v12, vcc, v6, v38
	v_subb_co_u32_e32 v13, vcc, v7, v39, vcc
	v_ashrrev_i32_e32 v15, 31, v13
	v_lshrrev_b32_e32 v15, 22, v15
	v_add_co_u32_e32 v48, vcc, v12, v15
	v_addc_co_u32_e32 v49, vcc, 0, v13, vcc
	v_and_b32_e32 v15, 0xfffffc00, v48
	v_add_co_u32_e32 v58, vcc, v15, v38
	v_addc_co_u32_e32 v59, vcc, v49, v39, vcc
	v_sub_co_u32_e32 v60, vcc, v12, v15
	v_subb_co_u32_e32 v61, vcc, v13, v49, vcc
	v_ashrrev_i64 v[32:33], 10, v[48:49]
	v_cmp_lt_i64_e32 vcc, 15, v[60:61]
	s_and_saveexec_b64 s[36:37], vcc
	s_cbranch_execz .LBB4_67
; %bb.66:                               ;   in Loop: Header=BB4_53 Depth=1
	v_add_co_u32_e32 v32, vcc, 1, v32
	v_accvgpr_read_b32 v6, a28
	v_addc_co_u32_e32 v33, vcc, 0, v33, vcc
	v_and_b32_e32 v48, 15, v6
	v_sub_co_u32_e32 v15, vcc, v60, v48
	v_mov_b32_e32 v6, v50
	v_subbrev_co_u32_e32 v50, vcc, 0, v61, vcc
	v_mov_b32_e32 v49, v36
	v_add_co_u32_e32 v58, vcc, v15, v58
	v_addc_co_u32_e32 v59, vcc, v50, v59, vcc
	v_mov_b32_e32 v50, v6
	v_pk_mov_b32 v[60:61], v[48:49], v[48:49] op_sel:[0,1]
	v_accvgpr_read_b32 v7, a29
.LBB4_67:                               ;   in Loop: Header=BB4_53 Depth=1
	s_or_b64 exec, exec, s[36:37]
	v_lshlrev_b32_e32 v14, 6, v14
	v_accvgpr_read_b32 v1, a7
	v_sub_u32_e32 v14, v1, v14
	v_ashrrev_i32_e32 v15, 31, v14
	v_lshrrev_b32_e32 v15, 26, v15
	v_add_u32_e32 v15, v14, v15
	v_ashrrev_i32_e32 v48, 6, v15
	v_and_b32_e32 v15, 0xffffffc0, v15
	v_sub_u32_e32 v35, v14, v15
	v_lshlrev_b32_e32 v14, 4, v35
	v_lshl_add_u32 v40, v48, 10, v14
	v_ashrrev_i32_e32 v41, 31, v40
	v_sub_co_u32_e32 v12, vcc, v12, v40
	v_subb_co_u32_e32 v13, vcc, v13, v41, vcc
	v_ashrrev_i32_e32 v15, 31, v48
	v_sub_co_u32_e32 v14, vcc, v32, v48
	v_subb_co_u32_e32 v15, vcc, v33, v15, vcc
	v_cmp_lt_i64_e32 vcc, 15, v[12:13]
	s_and_saveexec_b64 s[36:37], vcc
	s_cbranch_execz .LBB4_71
; %bb.68:                               ;   in Loop: Header=BB4_53 Depth=1
	v_accvgpr_write_b32 a34, v58
	v_accvgpr_write_b32 a35, v59
	v_add_co_u32_e32 v59, vcc, v44, v50
	v_addc_co_u32_e32 v58, vcc, v45, v47, vcc
	v_accvgpr_read_b32 v6, a12
	v_accvgpr_read_b32 v7, a13
	v_add_co_u32_e32 v32, vcc, v6, v46
	v_addc_co_u32_e32 v33, vcc, v7, v37, vcc
	v_add_co_u32_e32 v32, vcc, v32, v38
	v_addc_co_u32_e32 v33, vcc, v33, v39, vcc
	;; [unrolled: 2-line block ×3, first 2 shown]
	v_add_co_u32_e32 v38, vcc, v42, v34
	v_pk_mov_b32 v[6:7], v[42:43], v[42:43] op_sel:[0,1]
	v_pk_mov_b32 v[8:9], v[44:45], v[44:45] op_sel:[0,1]
	v_addc_co_u32_e32 v39, vcc, v43, v2, vcc
	s_mov_b64 s[38:39], 0
.LBB4_69:                               ;   Parent Loop BB4_53 Depth=1
                                        ; =>  This Inner Loop Header: Depth=2
	v_add_co_u32_e32 v48, vcc, v59, v32
	v_addc_co_u32_e32 v49, vcc, v58, v33, vcc
	global_load_dwordx4 v[40:43], v[48:49], off glc slc
	v_add_co_u32_e32 v48, vcc, v38, v32
	v_addc_co_u32_e32 v49, vcc, v39, v33, vcc
	v_sub_co_u32_e32 v12, vcc, v12, v52
	v_subbrev_co_u32_e32 v13, vcc, 0, v13, vcc
	v_sub_co_u32_e32 v14, vcc, v14, v30
	v_subbrev_co_u32_e32 v15, vcc, 0, v15, vcc
	v_add_co_u32_e32 v32, vcc, v32, v29
	v_addc_co_u32_e32 v33, vcc, v33, v62, vcc
	v_cmp_gt_i64_e32 vcc, 16, v[12:13]
	s_or_b64 s[38:39], vcc, s[38:39]
	s_waitcnt vmcnt(0)
	global_store_dwordx4 v[48:49], v[40:43], off glc slc
	s_andn2_b64 exec, exec, s[38:39]
	s_cbranch_execnz .LBB4_69
; %bb.70:                               ;   in Loop: Header=BB4_53 Depth=1
	s_or_b64 exec, exec, s[38:39]
	v_pk_mov_b32 v[44:45], v[8:9], v[8:9] op_sel:[0,1]
	v_accvgpr_read_b32 v59, a35
	v_pk_mov_b32 v[42:43], v[6:7], v[6:7] op_sel:[0,1]
	v_accvgpr_read_b32 v58, a34
.LBB4_71:                               ;   in Loop: Header=BB4_53 Depth=1
	s_or_b64 exec, exec, s[36:37]
	s_mov_b64 s[36:37], 0
	v_cmp_ne_u64_e32 vcc, 0, v[60:61]
	v_pk_mov_b32 v[8:9], 0, 0
                                        ; implicit-def: $vgpr1
                                        ; implicit-def: $vgpr40
                                        ; implicit-def: $vgpr32_vgpr33
	s_and_saveexec_b64 s[38:39], vcc
	s_cbranch_execz .LBB4_73
; %bb.72:                               ;   in Loop: Header=BB4_53 Depth=1
	v_cmp_lt_i64_e32 vcc, 0, v[14:15]
	v_cndmask_b32_e32 v12, 0, v30, vcc
	v_sub_u32_e32 v12, v12, v14
	v_lshl_add_u32 v1, v12, 6, v35
	v_ashrrev_i32_e32 v12, 31, v1
	v_lshrrev_b32_e32 v12, 26, v12
	v_add_u32_e32 v12, v1, v12
	v_ashrrev_i32_e32 v40, 6, v12
	v_ashrrev_i32_e32 v41, 31, v40
	s_mov_b64 s[36:37], exec
	v_pk_mov_b32 v[8:9], v[58:59], v[58:59] op_sel:[0,1]
	v_pk_mov_b32 v[32:33], v[40:41], v[40:41] op_sel:[0,1]
.LBB4_73:                               ;   in Loop: Header=BB4_53 Depth=1
	s_or_b64 exec, exec, s[38:39]
	s_and_b64 s[36:37], s[36:37], exec
.LBB4_74:                               ;   in Loop: Header=BB4_53 Depth=1
	s_or_b64 exec, exec, s[34:35]
	v_accvgpr_read_b32 v6, a16
	v_accvgpr_read_b32 v39, a29
	;; [unrolled: 1-line block ×4, first 2 shown]
	s_and_saveexec_b64 s[34:35], s[36:37]
	s_cbranch_execz .LBB4_84
.LBB4_75:                               ;   in Loop: Header=BB4_53 Depth=1
	v_ashrrev_i32_e32 v14, 31, v61
	v_lshrrev_b32_e32 v14, 22, v14
	v_add_co_u32_e32 v14, vcc, v60, v14
	v_addc_co_u32_e32 v15, vcc, 0, v61, vcc
	v_ashrrev_i64 v[6:7], 10, v[14:15]
	v_sub_co_u32_e32 v14, vcc, v6, v32
	v_subb_co_u32_e32 v15, vcc, v7, v33, vcc
	v_ashrrev_i32_e32 v32, 31, v1
	v_cmp_lt_i64_e32 vcc, 0, v[14:15]
	v_lshrrev_b32_e32 v35, 26, v32
	s_and_saveexec_b64 s[36:37], vcc
	s_cbranch_execz .LBB4_79
; %bb.76:                               ;   in Loop: Header=BB4_53 Depth=1
	v_add_u32_e32 v32, v1, v35
	v_accvgpr_write_b32 a45, v7
	v_and_b32_e32 v32, 0xffffffc0, v32
	v_accvgpr_write_b32 a44, v6
	v_sub_u32_e32 v32, v1, v32
	v_accvgpr_read_b32 v6, a12
	v_lshl_add_u32 v40, v40, 10, v32
	v_accvgpr_read_b32 v7, a13
	v_add_co_u32_e32 v32, vcc, v6, v46
	v_addc_co_u32_e32 v33, vcc, v7, v37, vcc
	v_add_co_u32_e32 v32, vcc, v32, v8
	v_addc_co_u32_e32 v33, vcc, v33, v9, vcc
	;; [unrolled: 2-line block ×5, first 2 shown]
	v_accvgpr_write_b32 a40, v60
	v_accvgpr_write_b32 a43, v9
	;; [unrolled: 1-line block ×3, first 2 shown]
	v_add_co_u32_e32 v32, vcc, v32, v34
	v_accvgpr_write_b32 a41, v61
	v_ashrrev_i32_e32 v41, 31, v40
	v_accvgpr_write_b32 a42, v8
	v_accvgpr_write_b32 a38, v50
	;; [unrolled: 1-line block ×5, first 2 shown]
	v_addc_co_u32_e32 v33, vcc, v33, v2, vcc
	s_mov_b64 s[38:39], 0
.LBB4_77:                               ;   Parent Loop BB4_53 Depth=1
                                        ; =>  This Inner Loop Header: Depth=2
	v_add_co_u32_e32 v48, vcc, v40, v38
	v_addc_co_u32_e32 v49, vcc, v41, v39, vcc
	flat_load_ubyte v50, v[48:49] glc slc
	flat_load_ubyte v51, v[48:49] offset:64 glc slc
	flat_load_ubyte v44, v[48:49] offset:128 glc slc
	;; [unrolled: 1-line block ×15, first 2 shown]
	v_add_co_u32_e32 v48, vcc, v40, v32
	v_addc_co_u32_e32 v49, vcc, v41, v33, vcc
	v_sub_co_u32_e32 v14, vcc, v14, v30
	v_subbrev_co_u32_e32 v15, vcc, 0, v15, vcc
	v_add_co_u32_e32 v38, vcc, v38, v29
	v_addc_co_u32_e32 v39, vcc, v39, v62, vcc
	v_add_co_u32_e32 v32, vcc, v32, v29
	v_addc_co_u32_e32 v33, vcc, v33, v62, vcc
	v_cmp_gt_i64_e32 vcc, 1, v[14:15]
	s_or_b64 s[38:39], vcc, s[38:39]
	s_waitcnt vmcnt(0) lgkmcnt(0)
	flat_store_byte v[48:49], v50 glc slc
	flat_store_byte v[48:49], v51 offset:64 glc slc
	flat_store_byte v[48:49], v44 offset:128 glc slc
	;; [unrolled: 1-line block ×15, first 2 shown]
	s_andn2_b64 exec, exec, s[38:39]
	s_cbranch_execnz .LBB4_77
; %bb.78:                               ;   in Loop: Header=BB4_53 Depth=1
	s_or_b64 exec, exec, s[38:39]
	v_accvgpr_read_b32 v45, a37
	v_accvgpr_read_b32 v61, a41
	;; [unrolled: 1-line block ×12, first 2 shown]
.LBB4_79:                               ;   in Loop: Header=BB4_53 Depth=1
	s_or_b64 exec, exec, s[36:37]
	v_lshlrev_b64 v[32:33], 10, v[6:7]
	v_cmp_ne_u64_e32 vcc, v[60:61], v[32:33]
	s_and_saveexec_b64 s[36:37], vcc
	s_cbranch_execz .LBB4_83
; %bb.80:                               ;   in Loop: Header=BB4_53 Depth=1
	v_add_u32_e32 v6, v1, v35
	v_and_b32_e32 v6, 0xffffffc0, v6
	v_sub_u32_e32 v6, v1, v6
	v_lshlrev_b32_e32 v7, 6, v14
	v_sub_u32_e32 v38, v6, v7
	v_ashrrev_i32_e32 v39, 31, v38
	v_add_co_u32_e32 v6, vcc, v32, v38
	v_addc_co_u32_e32 v7, vcc, v33, v39, vcc
	v_sub_co_u32_e32 v14, vcc, v60, v6
	v_subb_co_u32_e32 v15, vcc, v61, v7, vcc
	v_cmp_lt_i64_e32 vcc, 0, v[14:15]
	s_and_b64 exec, exec, vcc
	s_cbranch_execz .LBB4_83
; %bb.81:                               ;   in Loop: Header=BB4_53 Depth=1
	v_add_co_u32_e32 v40, vcc, v44, v50
	v_addc_co_u32_e32 v41, vcc, v45, v47, vcc
	v_accvgpr_read_b32 v6, a12
	v_accvgpr_read_b32 v7, a13
	v_add_co_u32_e32 v6, vcc, v6, v46
	v_addc_co_u32_e32 v7, vcc, v7, v37, vcc
	v_add_co_u32_e32 v6, vcc, v6, v8
	v_addc_co_u32_e32 v7, vcc, v7, v9, vcc
	;; [unrolled: 2-line block ×5, first 2 shown]
	s_mov_b64 s[38:39], 0
.LBB4_82:                               ;   Parent Loop BB4_53 Depth=1
                                        ; =>  This Inner Loop Header: Depth=2
	v_add_co_u32_e32 v12, vcc, v40, v8
	v_addc_co_u32_e32 v13, vcc, v41, v9, vcc
	flat_load_ubyte v32, v[12:13] glc slc
	v_add_co_u32_e32 v12, vcc, v6, v8
	v_addc_co_u32_e32 v13, vcc, v7, v9, vcc
	v_sub_co_u32_e32 v14, vcc, v14, v54
	v_subbrev_co_u32_e32 v15, vcc, 0, v15, vcc
	v_add_co_u32_e32 v8, vcc, v8, v54
	v_addc_co_u32_e32 v9, vcc, v9, v21, vcc
	v_cmp_gt_i64_e32 vcc, 1, v[14:15]
	s_or_b64 s[38:39], vcc, s[38:39]
	s_waitcnt vmcnt(0) lgkmcnt(0)
	flat_store_byte v[12:13], v32 glc slc
	s_andn2_b64 exec, exec, s[38:39]
	s_cbranch_execnz .LBB4_82
.LBB4_83:                               ;   in Loop: Header=BB4_53 Depth=1
	s_or_b64 exec, exec, s[36:37]
	v_accvgpr_read_b32 v6, a16
	v_accvgpr_read_b32 v39, a29
	;; [unrolled: 1-line block ×4, first 2 shown]
.LBB4_84:                               ;   in Loop: Header=BB4_53 Depth=1
	s_or_b64 exec, exec, s[34:35]
	s_xor_b64 s[36:37], exec, -1
	v_accvgpr_read_b32 v35, a5
.LBB4_85:                               ;   in Loop: Header=BB4_53 Depth=1
	s_or_b64 exec, exec, s[22:23]
	s_and_saveexec_b64 s[34:35], s[36:37]
	s_cbranch_execz .LBB4_614
.LBB4_86:                               ;   in Loop: Header=BB4_53 Depth=1
	v_cmp_lt_i64_e32 vcc, 0, v[38:39]
	s_and_saveexec_b64 s[36:37], vcc
	s_cbranch_execz .LBB4_613
; %bb.87:                               ;   in Loop: Header=BB4_53 Depth=1
	s_add_i32 s73, s26, -1
	s_cmp_gt_u32 s26, 1
	s_mov_b64 s[38:39], 0
	s_cselect_b64 s[40:41], -1, 0
	v_pk_mov_b32 v[8:9], 0, 0
	s_branch .LBB4_90
.LBB4_88:                               ;   in Loop: Header=BB4_90 Depth=2
	s_or_b64 exec, exec, s[44:45]
.LBB4_89:                               ;   in Loop: Header=BB4_90 Depth=2
	s_or_b64 exec, exec, s[42:43]
	v_accvgpr_read_b32 v8, a34
	v_accvgpr_read_b32 v9, a35
	v_add_co_u32_e32 v8, vcc, v8, v6
	v_addc_co_u32_e32 v9, vcc, 0, v9, vcc
	v_cmp_ge_i64_e32 vcc, v[8:9], v[38:39]
	s_or_b64 s[38:39], vcc, s[38:39]
	s_andn2_b64 exec, exec, s[38:39]
	s_cbranch_execz .LBB4_612
.LBB4_90:                               ;   Parent Loop BB4_53 Depth=1
                                        ; =>  This Loop Header: Depth=2
                                        ;       Child Loop BB4_96 Depth 3
                                        ;         Child Loop BB4_104 Depth 4
                                        ;         Child Loop BB4_128 Depth 4
	;; [unrolled: 1-line block ×8, first 2 shown]
                                        ;       Child Loop BB4_216 Depth 3
                                        ;         Child Loop BB4_222 Depth 4
                                        ;         Child Loop BB4_246 Depth 4
                                        ;       Child Loop BB4_266 Depth 3
                                        ;         Child Loop BB4_269 Depth 4
                                        ;           Child Loop BB4_277 Depth 5
                                        ;           Child Loop BB4_305 Depth 5
                                        ;           Child Loop BB4_324 Depth 5
                                        ;           Child Loop BB4_344 Depth 5
                                        ;           Child Loop BB4_349 Depth 5
                                        ;           Child Loop BB4_357 Depth 5
                                        ;           Child Loop BB4_362 Depth 5
                                        ;           Child Loop BB4_373 Depth 5
                                        ;         Child Loop BB4_394 Depth 4
                                        ;           Child Loop BB4_400 Depth 5
                                        ;           Child Loop BB4_428 Depth 5
                                        ;       Child Loop BB4_448 Depth 3
                                        ;         Child Loop BB4_458 Depth 4
                                        ;         Child Loop BB4_480 Depth 4
	;; [unrolled: 1-line block ×8, first 2 shown]
                                        ;       Child Loop BB4_567 Depth 3
                                        ;         Child Loop BB4_573 Depth 4
                                        ;         Child Loop BB4_597 Depth 4
	v_pk_mov_b32 v[12:13], v[8:9], v[8:9] op_sel:[0,1]
	v_sub_co_u32_e32 v8, vcc, v38, v12
	v_subb_co_u32_e32 v9, vcc, v39, v13, vcc
	v_cmp_lt_i64_e32 vcc, v[6:7], v[8:9]
	v_cndmask_b32_e32 v8, v8, v6, vcc
	v_max_i32_e32 v40, 0, v8
	v_add_u32_e32 v9, 31, v40
	v_lshrrev_b32_e32 v9, 1, v9
	v_and_b32_e32 v9, 0x3ffffff0, v9
	v_accvgpr_write_b32 a35, v13
	v_max_i32_e32 v1, s68, v9
	v_cmp_lt_i32_e32 vcc, 0, v8
	v_accvgpr_write_b32 a34, v12
	s_and_b64 s[42:43], s[30:31], vcc
	v_mov_b32_e32 v9, 0
	v_accvgpr_write_b32 a33, v1
	v_mov_b32_e32 v8, v1
	v_mov_b32_e32 v38, 0
	s_and_saveexec_b64 s[44:45], s[42:43]
	s_cbranch_execnz .LBB4_93
; %bb.91:                               ;   in Loop: Header=BB4_90 Depth=2
	s_or_b64 exec, exec, s[44:45]
	v_cmp_gt_i32_e32 vcc, 2, v9
	s_and_saveexec_b64 s[44:45], vcc
	s_cbranch_execnz .LBB4_213
.LBB4_92:                               ;   in Loop: Header=BB4_90 Depth=2
	s_or_b64 exec, exec, s[44:45]
	s_andn2_b64 vcc, exec, s[40:41]
	s_cbranch_vccz .LBB4_263
	s_branch .LBB4_445
.LBB4_93:                               ;   in Loop: Header=BB4_90 Depth=2
	s_mov_b32 s74, 1
	s_mov_b64 s[48:49], -1
	s_mov_b64 s[46:47], 0
	v_mov_b32_e32 v38, 0
	v_accvgpr_read_b32 v8, a33
	s_branch .LBB4_96
.LBB4_94:                               ;   in Loop: Header=BB4_96 Depth=3
	s_or_b64 exec, exec, vcc
	v_add_co_u32_e32 v16, vcc, 2, v16
	v_addc_co_u32_e32 v17, vcc, 0, v17, vcc
	flat_store_dwordx2 v[18:19], v[16:17]
.LBB4_95:                               ;   in Loop: Header=BB4_96 Depth=3
	s_or_b64 exec, exec, s[22:23]
	v_add_u32_e32 v38, v8, v38
	v_cmp_ge_i32_e32 vcc, v38, v40
	s_xor_b64 s[22:23], s[48:49], -1
	s_or_b64 s[22:23], s[22:23], vcc
	s_and_b64 s[22:23], exec, s[22:23]
	s_or_b64 s[46:47], s[22:23], s[46:47]
	s_mov_b64 s[48:49], 0
	v_mov_b32_e32 v9, s74
	s_mov_b32 s74, 2
	s_andn2_b64 exec, exec, s[46:47]
	s_cbranch_execz .LBB4_212
.LBB4_96:                               ;   Parent Loop BB4_53 Depth=1
                                        ;     Parent Loop BB4_90 Depth=2
                                        ; =>    This Loop Header: Depth=3
                                        ;         Child Loop BB4_104 Depth 4
                                        ;         Child Loop BB4_128 Depth 4
	;; [unrolled: 1-line block ×8, first 2 shown]
	s_and_saveexec_b64 s[22:23], s[4:5]
	s_cbranch_execz .LBB4_98
; %bb.97:                               ;   in Loop: Header=BB4_96 Depth=3
	s_trap 2
	ds_read_b64 v[12:13], v0
	v_accvgpr_read_b32 v1, a24
	v_accvgpr_read_b32 v6, a34
	;; [unrolled: 1-line block ×3, first 2 shown]
	v_ashrrev_i32_e32 v14, 31, v38
	s_waitcnt lgkmcnt(0)
	v_add_co_u32_e32 v9, vcc, v12, v1
	v_accvgpr_read_b32 v1, a30
	v_addc_co_u32_e32 v12, vcc, v13, v1, vcc
	v_add_co_u32_e32 v9, vcc, v9, v6
	v_addc_co_u32_e32 v13, vcc, v12, v7, vcc
	v_add_co_u32_e32 v12, vcc, v9, v38
	v_addc_co_u32_e32 v13, vcc, v13, v14, vcc
	v_mov_b32_e32 v37, v36
	ds_write_b64 v0, v[12:13]
	ds_write_b64 v0, v[36:37]
.LBB4_98:                               ;   in Loop: Header=BB4_96 Depth=3
	s_or_b64 exec, exec, s[22:23]
	v_and_b32_e32 v9, 8, v55
	v_cmp_ne_u32_e32 vcc, 0, v9
	s_mov_b64 s[50:51], -1
	s_and_saveexec_b64 s[22:23], vcc
	s_cbranch_execz .LBB4_110
; %bb.99:                               ;   in Loop: Header=BB4_96 Depth=3
	v_add_co_u32_e32 v14, vcc, 8, v26
	v_addc_co_u32_e32 v15, vcc, 0, v27, vcc
	v_add_co_u32_e32 v12, vcc, 2, v16
	v_addc_co_u32_e32 v13, vcc, 0, v17, vcc
	v_cmp_lt_u64_e32 vcc, v[14:15], v[12:13]
	v_mov_b32_e32 v9, 1
	s_and_saveexec_b64 s[50:51], vcc
	s_cbranch_execz .LBB4_109
; %bb.100:                              ;   in Loop: Header=BB4_96 Depth=3
	s_mov_b64 s[52:53], 0
	v_mov_b32_e32 v9, 0
                                        ; implicit-def: $sgpr54_sgpr55
	s_branch .LBB4_104
.LBB4_101:                              ;   in Loop: Header=BB4_104 Depth=4
	s_or_b64 exec, exec, s[62:63]
	v_mov_b32_e32 v14, 0
	s_orn2_b64 s[60:61], s[60:61], exec
.LBB4_102:                              ;   in Loop: Header=BB4_104 Depth=4
	s_or_b64 exec, exec, s[58:59]
	s_andn2_b64 vcc, s[54:55], exec
	s_and_b64 s[54:55], s[60:61], exec
	s_or_b64 s[54:55], vcc, s[54:55]
	v_mov_b32_e32 v9, v14
.LBB4_103:                              ;   in Loop: Header=BB4_104 Depth=4
	s_or_b64 exec, exec, s[56:57]
	s_waitcnt vmcnt(0) lgkmcnt(0)
	v_add_co_u32_e32 v14, vcc, 8, v26
	v_addc_co_u32_e32 v15, vcc, 0, v27, vcc
	v_cmp_ge_u64_e32 vcc, v[14:15], v[12:13]
	s_xor_b64 s[56:57], s[54:55], -1
	s_or_b64 vcc, s[56:57], vcc
	s_and_b64 vcc, exec, vcc
	s_or_b64 s[52:53], vcc, s[52:53]
	s_andn2_b64 exec, exec, s[52:53]
	s_cbranch_execz .LBB4_108
.LBB4_104:                              ;   Parent Loop BB4_53 Depth=1
                                        ;     Parent Loop BB4_90 Depth=2
                                        ;       Parent Loop BB4_96 Depth=3
                                        ; =>      This Inner Loop Header: Depth=4
	s_sleep 1
	flat_load_dwordx2 v[26:27], v[18:19] glc
	v_and_b32_e32 v14, 64, v55
	v_cmp_eq_u32_e32 vcc, 0, v14
	s_andn2_b64 s[54:55], s[54:55], exec
	s_and_saveexec_b64 s[56:57], vcc
	s_cbranch_execz .LBB4_103
; %bb.105:                              ;   in Loop: Header=BB4_104 Depth=4
	v_add_u32_e32 v14, 1, v9
	v_cmp_lt_i32_e32 vcc, s71, v9
	s_mov_b64 s[60:61], -1
	s_and_saveexec_b64 s[58:59], vcc
	s_cbranch_execz .LBB4_102
; %bb.106:                              ;   in Loop: Header=BB4_104 Depth=4
	s_trap 2
	ds_read_b64 v[14:15], v0
	s_waitcnt vmcnt(0) lgkmcnt(0)
	flat_load_dword v9, v[14:15] glc
	s_waitcnt vmcnt(0) lgkmcnt(0)
	buffer_invl2
	buffer_wbinvl1_vol
	v_cmp_ne_u32_e32 vcc, 0, v9
	s_and_saveexec_b64 s[62:63], vcc
	s_cbranch_execz .LBB4_101
; %bb.107:                              ;   in Loop: Header=BB4_104 Depth=4
	v_or_b32_e32 v55, 64, v55
	s_xor_b64 s[60:61], exec, -1
	ds_write_b32 v0, v9
	s_trap 2
	s_branch .LBB4_101
.LBB4_108:                              ;   in Loop: Header=BB4_96 Depth=3
	s_or_b64 exec, exec, s[52:53]
	v_and_b32_e32 v9, 8, v55
.LBB4_109:                              ;   in Loop: Header=BB4_96 Depth=3
	s_or_b64 exec, exec, s[50:51]
	v_cmp_eq_u32_e32 vcc, 0, v9
	s_orn2_b64 s[50:51], vcc, exec
	;;#ASMSTART
	s_wakeup
	;;#ASMEND
.LBB4_110:                              ;   in Loop: Header=BB4_96 Depth=3
	s_or_b64 exec, exec, s[22:23]
	v_sub_u32_e32 v9, v40, v38
	s_xor_b64 s[22:23], s[50:51], -1
	v_min_i32_e32 v8, v8, v9
	s_and_saveexec_b64 s[50:51], s[22:23]
	s_cbranch_execz .LBB4_120
; %bb.111:                              ;   in Loop: Header=BB4_96 Depth=3
	v_and_b32_e32 v9, 0x100, v55
	v_cmp_ne_u32_e32 vcc, 0, v9
	v_and_b32_e32 v32, 7, v16
	s_mov_b64 s[22:23], -1
                                        ; implicit-def: $vgpr12_vgpr13
	s_and_saveexec_b64 s[52:53], vcc
	s_cbranch_execz .LBB4_115
; %bb.112:                              ;   in Loop: Header=BB4_96 Depth=3
	v_mad_u64_u32 v[14:15], s[22:23], v32, 24, v[4:5]
	flat_load_dword v12, v[14:15]
	v_ashrrev_i32_e32 v9, 31, v8
	flat_store_dwordx2 v[14:15], v[8:9] offset:8
	s_waitcnt vmcnt(0) lgkmcnt(0)
	v_cmp_ne_u32_e32 vcc, 1, v12
	v_cmp_eq_u32_e64 s[22:23], 1, v12
                                        ; implicit-def: $vgpr12_vgpr13
	s_and_saveexec_b64 s[54:55], s[22:23]
	s_cbranch_execz .LBB4_114
; %bb.113:                              ;   in Loop: Header=BB4_96 Depth=3
	flat_load_dword v12, v[14:15] offset:4 glc
	s_waitcnt vmcnt(0) lgkmcnt(0)
	v_ashrrev_i32_e32 v13, 31, v12
.LBB4_114:                              ;   in Loop: Header=BB4_96 Depth=3
	s_or_b64 exec, exec, s[54:55]
	s_orn2_b64 s[22:23], vcc, exec
.LBB4_115:                              ;   in Loop: Header=BB4_96 Depth=3
	s_or_b64 exec, exec, s[52:53]
	s_and_saveexec_b64 vcc, s[22:23]
; %bb.116:                              ;   in Loop: Header=BB4_96 Depth=3
	v_mad_i64_i32 v[12:13], s[22:23], v32, v20, 0
; %bb.117:                              ;   in Loop: Header=BB4_96 Depth=3
	s_or_b64 exec, exec, vcc
	v_add_co_u32_e32 v12, vcc, v22, v12
	v_addc_co_u32_e32 v13, vcc, v23, v13, vcc
	v_and_b32_e32 v9, 0x2000, v55
	v_cmp_ne_u32_e32 vcc, 0, v9
	ds_write_b64 v0, v[12:13] offset:784
	s_and_saveexec_b64 s[22:23], vcc
	s_cbranch_execz .LBB4_119
; %bb.118:                              ;   in Loop: Header=BB4_96 Depth=3
	ds_read_b64 v[12:13], v0 offset:584
	s_waitcnt lgkmcnt(0)
	v_add_co_u32_e32 v12, vcc, 1, v12
	v_addc_co_u32_e32 v13, vcc, 0, v13, vcc
	ds_write_b64 v0, v[12:13] offset:584
.LBB4_119:                              ;   in Loop: Header=BB4_96 Depth=3
	s_or_b64 exec, exec, s[22:23]
	v_add_co_u32_e32 v16, vcc, 2, v16
	v_addc_co_u32_e32 v17, vcc, 0, v17, vcc
.LBB4_120:                              ;   in Loop: Header=BB4_96 Depth=3
	s_or_b64 exec, exec, s[50:51]
	s_and_saveexec_b64 s[22:23], s[6:7]
	s_cbranch_execz .LBB4_139
; %bb.121:                              ;   in Loop: Header=BB4_96 Depth=3
	s_and_saveexec_b64 vcc, s[28:29]
	s_xor_b64 s[50:51], exec, vcc
	s_cbranch_execz .LBB4_136
; %bb.122:                              ;   in Loop: Header=BB4_96 Depth=3
	s_and_saveexec_b64 s[52:53], s[12:13]
	s_cbranch_execz .LBB4_135
; %bb.123:                              ;   in Loop: Header=BB4_96 Depth=3
	s_mov_b64 s[56:57], exec
	v_mbcnt_lo_u32_b32 v9, s56, 0
	v_mbcnt_hi_u32_b32 v9, s57, v9
	v_cmp_eq_u32_e32 vcc, 0, v9
	s_waitcnt vmcnt(0) lgkmcnt(0)
	buffer_wbinvl1_vol
	s_and_saveexec_b64 s[54:55], vcc
	s_cbranch_execz .LBB4_125
; %bb.124:                              ;   in Loop: Header=BB4_96 Depth=3
	s_bcnt1_i32_b64 vcc_lo, s[56:57]
	v_mov_b32_e32 v12, vcc_lo
	v_mov_b32_e32 v13, v36
	ds_add_u64 v0, v[12:13]
	s_trap 2
.LBB4_125:                              ;   in Loop: Header=BB4_96 Depth=3
	s_or_b64 exec, exec, s[54:55]
	s_trap 2
	ds_read_b64 v[12:13], v0
	v_add_co_u32_e32 v10, vcc, v10, v30
	v_addc_co_u32_e32 v11, vcc, 0, v11, vcc
	s_waitcnt lgkmcnt(0)
	v_cmp_lt_u64_e32 vcc, v[12:13], v[10:11]
	s_and_saveexec_b64 s[54:55], vcc
	s_cbranch_execz .LBB4_134
; %bb.126:                              ;   in Loop: Header=BB4_96 Depth=3
	s_mov_b32 s75, 0
	s_mov_b64 s[56:57], 0
                                        ; implicit-def: $sgpr58_sgpr59
                                        ; implicit-def: $sgpr60_sgpr61
	s_branch .LBB4_128
.LBB4_127:                              ;   in Loop: Header=BB4_128 Depth=4
	s_or_b64 exec, exec, s[64:65]
	s_and_b64 vcc, exec, vcc
	s_or_b64 s[56:57], vcc, s[56:57]
	s_andn2_b64 vcc, s[58:59], exec
	s_and_b64 s[58:59], s[60:61], exec
	s_or_b64 s[58:59], vcc, s[58:59]
	s_andn2_b64 exec, exec, s[56:57]
	s_cbranch_execz .LBB4_132
.LBB4_128:                              ;   Parent Loop BB4_53 Depth=1
                                        ;     Parent Loop BB4_90 Depth=2
                                        ;       Parent Loop BB4_96 Depth=3
                                        ; =>      This Inner Loop Header: Depth=4
	s_add_i32 s75, s75, 1
	s_cmpk_lg_i32 s75, 0x2710
	s_cselect_b64 s[62:63], -1, 0
	s_and_b64 vcc, exec, s[62:63]
                                        ; implicit-def: $sgpr64_sgpr65
	s_cbranch_vccnz .LBB4_130
; %bb.129:                              ;   in Loop: Header=BB4_128 Depth=4
	s_trap 2
	ds_read_b64 v[12:13], v0
	s_andn2_b64 s[62:63], s[62:63], exec
	s_mov_b32 s75, 0
	s_mov_b64 s[64:65], -1
	s_waitcnt lgkmcnt(0)
	flat_load_dword v9, v[12:13] glc
	s_waitcnt vmcnt(0) lgkmcnt(0)
	buffer_invl2
	buffer_wbinvl1_vol
	v_cmp_eq_u32_e32 vcc, 0, v9
	s_and_b64 vcc, vcc, exec
	s_or_b64 s[62:63], s[62:63], vcc
.LBB4_130:                              ;   in Loop: Header=BB4_128 Depth=4
	s_andn2_b64 s[60:61], s[60:61], exec
	s_and_b64 s[64:65], s[64:65], exec
	s_mov_b64 vcc, -1
	s_or_b64 s[60:61], s[60:61], s[64:65]
	s_and_saveexec_b64 s[64:65], s[62:63]
	s_cbranch_execz .LBB4_127
; %bb.131:                              ;   in Loop: Header=BB4_128 Depth=4
	s_sleep 1
	s_trap 2
	ds_read_b64 v[12:13], v0
	s_andn2_b64 s[60:61], s[60:61], exec
	s_waitcnt lgkmcnt(0)
	v_cmp_ge_u64_e32 vcc, v[12:13], v[10:11]
	s_orn2_b64 vcc, vcc, exec
	s_branch .LBB4_127
.LBB4_132:                              ;   in Loop: Header=BB4_96 Depth=3
	s_or_b64 exec, exec, s[56:57]
	s_and_saveexec_b64 vcc, s[58:59]
	s_xor_b64 vcc, exec, vcc
	s_cbranch_execz .LBB4_134
; %bb.133:                              ;   in Loop: Header=BB4_96 Depth=3
	ds_write_b32 v0, v31
	s_trap 2
.LBB4_134:                              ;   in Loop: Header=BB4_96 Depth=3
	s_or_b64 exec, exec, s[54:55]
	;;#ASMSTART
	s_wakeup
	;;#ASMEND
.LBB4_135:                              ;   in Loop: Header=BB4_96 Depth=3
	s_or_b64 exec, exec, s[52:53]
.LBB4_136:                              ;   in Loop: Header=BB4_96 Depth=3
	s_andn2_saveexec_b64 vcc, s[50:51]
	s_cbranch_execz .LBB4_138
; %bb.137:                              ;   in Loop: Header=BB4_96 Depth=3
	s_waitcnt vmcnt(0) lgkmcnt(0)
	buffer_wbinvl1_vol
	s_barrier
.LBB4_138:                              ;   in Loop: Header=BB4_96 Depth=3
	s_or_b64 exec, exec, vcc
.LBB4_139:                              ;   in Loop: Header=BB4_96 Depth=3
	s_or_b64 exec, exec, s[22:23]
	s_trap 2
	ds_read_b32 v9, v0
	v_and_b32_e32 v12, 0x4000, v55
	v_cmp_ne_u32_e32 vcc, 0, v12
	s_xor_b64 s[22:23], s[14:15], -1
	s_and_b64 vcc, s[22:23], vcc
	s_and_saveexec_b64 s[22:23], vcc
	s_cbranch_execz .LBB4_158
; %bb.140:                              ;   in Loop: Header=BB4_96 Depth=3
	s_and_saveexec_b64 vcc, s[28:29]
	s_xor_b64 s[50:51], exec, vcc
	s_cbranch_execz .LBB4_155
; %bb.141:                              ;   in Loop: Header=BB4_96 Depth=3
	s_and_saveexec_b64 s[52:53], s[12:13]
	s_cbranch_execz .LBB4_154
; %bb.142:                              ;   in Loop: Header=BB4_96 Depth=3
	s_mov_b64 s[56:57], exec
	v_mbcnt_lo_u32_b32 v12, s56, 0
	v_mbcnt_hi_u32_b32 v12, s57, v12
	v_cmp_eq_u32_e32 vcc, 0, v12
	s_waitcnt vmcnt(0) lgkmcnt(0)
	buffer_wbinvl1_vol
	s_and_saveexec_b64 s[54:55], vcc
	s_cbranch_execz .LBB4_144
; %bb.143:                              ;   in Loop: Header=BB4_96 Depth=3
	s_bcnt1_i32_b64 vcc_lo, s[56:57]
	v_mov_b32_e32 v12, vcc_lo
	v_mov_b32_e32 v13, v36
	ds_add_u64 v0, v[12:13]
	s_trap 2
.LBB4_144:                              ;   in Loop: Header=BB4_96 Depth=3
	s_or_b64 exec, exec, s[54:55]
	s_trap 2
	ds_read_b64 v[12:13], v0
	v_add_co_u32_e32 v10, vcc, v10, v30
	v_addc_co_u32_e32 v11, vcc, 0, v11, vcc
	s_waitcnt lgkmcnt(0)
	v_cmp_lt_u64_e32 vcc, v[12:13], v[10:11]
	s_and_saveexec_b64 s[54:55], vcc
	s_cbranch_execz .LBB4_153
; %bb.145:                              ;   in Loop: Header=BB4_96 Depth=3
	s_mov_b32 s75, 0
	s_mov_b64 s[56:57], 0
                                        ; implicit-def: $sgpr58_sgpr59
                                        ; implicit-def: $sgpr60_sgpr61
	s_branch .LBB4_147
.LBB4_146:                              ;   in Loop: Header=BB4_147 Depth=4
	s_or_b64 exec, exec, s[64:65]
	s_and_b64 vcc, exec, vcc
	s_or_b64 s[56:57], vcc, s[56:57]
	s_andn2_b64 vcc, s[58:59], exec
	s_and_b64 s[58:59], s[60:61], exec
	s_or_b64 s[58:59], vcc, s[58:59]
	s_andn2_b64 exec, exec, s[56:57]
	s_cbranch_execz .LBB4_151
.LBB4_147:                              ;   Parent Loop BB4_53 Depth=1
                                        ;     Parent Loop BB4_90 Depth=2
                                        ;       Parent Loop BB4_96 Depth=3
                                        ; =>      This Inner Loop Header: Depth=4
	s_add_i32 s75, s75, 1
	s_cmpk_lg_i32 s75, 0x2710
	s_cselect_b64 s[62:63], -1, 0
	s_and_b64 vcc, exec, s[62:63]
                                        ; implicit-def: $sgpr64_sgpr65
	s_cbranch_vccnz .LBB4_149
; %bb.148:                              ;   in Loop: Header=BB4_147 Depth=4
	s_trap 2
	ds_read_b64 v[12:13], v0
	s_andn2_b64 s[62:63], s[62:63], exec
	s_mov_b32 s75, 0
	s_mov_b64 s[64:65], -1
	s_waitcnt lgkmcnt(0)
	flat_load_dword v12, v[12:13] glc
	s_waitcnt vmcnt(0) lgkmcnt(0)
	buffer_invl2
	buffer_wbinvl1_vol
	v_cmp_eq_u32_e32 vcc, 0, v12
	s_and_b64 vcc, vcc, exec
	s_or_b64 s[62:63], s[62:63], vcc
.LBB4_149:                              ;   in Loop: Header=BB4_147 Depth=4
	s_andn2_b64 s[60:61], s[60:61], exec
	s_and_b64 s[64:65], s[64:65], exec
	s_mov_b64 vcc, -1
	s_or_b64 s[60:61], s[60:61], s[64:65]
	s_and_saveexec_b64 s[64:65], s[62:63]
	s_cbranch_execz .LBB4_146
; %bb.150:                              ;   in Loop: Header=BB4_147 Depth=4
	s_sleep 1
	s_trap 2
	ds_read_b64 v[12:13], v0
	s_andn2_b64 s[60:61], s[60:61], exec
	s_waitcnt lgkmcnt(0)
	v_cmp_ge_u64_e32 vcc, v[12:13], v[10:11]
	s_orn2_b64 vcc, vcc, exec
	s_branch .LBB4_146
.LBB4_151:                              ;   in Loop: Header=BB4_96 Depth=3
	s_or_b64 exec, exec, s[56:57]
	s_and_saveexec_b64 vcc, s[58:59]
	s_xor_b64 vcc, exec, vcc
	s_cbranch_execz .LBB4_153
; %bb.152:                              ;   in Loop: Header=BB4_96 Depth=3
	ds_write_b32 v0, v31
	s_trap 2
.LBB4_153:                              ;   in Loop: Header=BB4_96 Depth=3
	s_or_b64 exec, exec, s[54:55]
	;;#ASMSTART
	s_wakeup
	;;#ASMEND
.LBB4_154:                              ;   in Loop: Header=BB4_96 Depth=3
	s_or_b64 exec, exec, s[52:53]
.LBB4_155:                              ;   in Loop: Header=BB4_96 Depth=3
	s_andn2_saveexec_b64 vcc, s[50:51]
	s_cbranch_execz .LBB4_157
; %bb.156:                              ;   in Loop: Header=BB4_96 Depth=3
	s_waitcnt vmcnt(0) lgkmcnt(0)
	buffer_wbinvl1_vol
	s_barrier
.LBB4_157:                              ;   in Loop: Header=BB4_96 Depth=3
	s_or_b64 exec, exec, vcc
.LBB4_158:                              ;   in Loop: Header=BB4_96 Depth=3
	s_or_b64 exec, exec, s[22:23]
	s_trap 2
	ds_read_b64 v[12:13], v0
	v_mov_b32_e32 v37, 0
	s_waitcnt lgkmcnt(0)
	v_readfirstlane_b32 s22, v12
	v_readfirstlane_b32 s23, v13
	s_cmp_eq_u64 s[22:23], 0
	s_cselect_b64 s[22:23], -1, 0
	s_or_b64 s[22:23], s[22:23], s[22:23]
	s_and_b64 vcc, exec, s[22:23]
	s_cbranch_vccnz .LBB4_188
; %bb.159:                              ;   in Loop: Header=BB4_96 Depth=3
	s_mov_b64 s[22:23], -1
	s_and_saveexec_b64 s[50:51], s[10:11]
	s_cbranch_execz .LBB4_161
; %bb.160:                              ;   in Loop: Header=BB4_96 Depth=3
	ds_read_b32 v12, v0 offset:720
	s_waitcnt lgkmcnt(0)
	v_and_b32_e32 v12, 15, v12
	v_cmp_eq_u32_e32 vcc, 0, v12
	s_orn2_b64 s[22:23], vcc, exec
.LBB4_161:                              ;   in Loop: Header=BB4_96 Depth=3
	s_or_b64 exec, exec, s[50:51]
	s_and_saveexec_b64 s[50:51], s[16:17]
	s_cbranch_execz .LBB4_163
; %bb.162:                              ;   in Loop: Header=BB4_96 Depth=3
	ds_read_b32 v12, v0 offset:784
	s_waitcnt lgkmcnt(0)
	v_and_b32_e32 v12, 15, v12
	v_cmp_eq_u32_e32 vcc, 0, v12
	s_and_b64 vcc, s[22:23], vcc
	s_andn2_b64 s[22:23], s[22:23], exec
	s_and_b64 vcc, vcc, exec
	s_or_b64 s[22:23], s[22:23], vcc
.LBB4_163:                              ;   in Loop: Header=BB4_96 Depth=3
	s_or_b64 exec, exec, s[50:51]
	s_xor_b64 s[22:23], s[22:23], -1
	v_cmp_eq_u32_e32 vcc, 0, v9
	v_cndmask_b32_e64 v9, 0, 1, s[22:23]
	v_cndmask_b32_e32 v37, 0, v8, vcc
	;;#ASMSTART
	;;#ASMEND
	v_mov_b32_e32 v15, 0
	s_mov_b64 s[52:53], -1
	v_cmp_ne_u32_e32 vcc, 0, v9
	v_mov_b32_e32 v39, v37
	v_mov_b32_e32 v42, v0
	;; [unrolled: 1-line block ×3, first 2 shown]
	s_cbranch_vccz .LBB4_165
; %bb.164:                              ;   in Loop: Header=BB4_96 Depth=3
	s_and_saveexec_b64 s[22:23], s[52:53]
	s_cbranch_execnz .LBB4_178
	s_branch .LBB4_187
.LBB4_165:                              ;   in Loop: Header=BB4_96 Depth=3
	v_ashrrev_i32_e32 v9, 31, v37
	v_lshrrev_b32_e32 v9, 21, v9
	v_add_u32_e32 v9, v37, v9
	v_ashrrev_i32_e32 v9, 11, v9
	v_sub_u32_e32 v33, v9, v56
	v_cmp_lt_i32_e32 vcc, 0, v33
	s_and_saveexec_b64 s[22:23], vcc
	s_cbranch_execz .LBB4_169
; %bb.166:                              ;   in Loop: Header=BB4_96 Depth=3
	s_trap 2
	ds_read_b64 v[12:13], v0
	v_accvgpr_read_b32 v14, a20
	s_mov_b64 s[50:51], 0
	v_accvgpr_read_b32 v15, a21
.LBB4_167:                              ;   Parent Loop BB4_53 Depth=1
                                        ;     Parent Loop BB4_90 Depth=2
                                        ;       Parent Loop BB4_96 Depth=3
                                        ; =>      This Inner Loop Header: Depth=4
	s_waitcnt lgkmcnt(0)
	v_add_co_u32_e32 v48, vcc, v12, v14
	v_addc_co_u32_e32 v49, vcc, v13, v15, vcc
	global_load_dwordx4 v[58:61], v[48:49], off glc slc
	global_load_dwordx4 v[42:45], v[48:49], off offset:1024 glc slc
	v_add_co_u32_e32 v14, vcc, v14, v3
	v_sub_u32_e32 v33, v33, v30
	v_addc_co_u32_e32 v15, vcc, v15, v28, vcc
	v_cmp_gt_i32_e32 vcc, 1, v33
	s_or_b64 s[50:51], vcc, s[50:51]
	s_waitcnt vmcnt(0)
	global_store_dwordx4 v[48:49], v[58:61], off glc slc
	global_store_dwordx4 v[48:49], v[42:45], off offset:1024 glc slc
	s_andn2_b64 exec, exec, s[50:51]
	s_cbranch_execnz .LBB4_167
; %bb.168:                              ;   in Loop: Header=BB4_96 Depth=3
	s_or_b64 exec, exec, s[50:51]
	v_accvgpr_read_b32 v53, a23
.LBB4_169:                              ;   in Loop: Header=BB4_96 Depth=3
	s_or_b64 exec, exec, s[22:23]
	v_lshlrev_b32_e32 v32, 11, v9
	v_cmp_ne_u32_e32 vcc, v37, v32
	s_mov_b64 s[52:53], 0
	v_mov_b32_e32 v15, 0
                                        ; implicit-def: $vgpr39
                                        ; implicit-def: $vgpr42
                                        ; implicit-def: $vgpr9
	s_and_saveexec_b64 s[50:51], vcc
	s_cbranch_execz .LBB4_177
; %bb.170:                              ;   in Loop: Header=BB4_96 Depth=3
	v_lshlrev_b32_e32 v9, 6, v33
	v_accvgpr_read_b32 v1, a7
	v_sub_u32_e32 v9, v1, v9
	v_ashrrev_i32_e32 v13, 31, v9
	v_lshrrev_b32_e32 v13, 26, v13
	v_add_u32_e32 v13, v9, v13
	v_sub_u32_e32 v12, v37, v32
	v_ashrrev_i32_e32 v14, 6, v13
	v_and_b32_e32 v13, 0xffffffc0, v13
	v_sub_u32_e32 v33, v9, v13
	v_ashrrev_i32_e32 v13, 31, v12
	v_lshrrev_b32_e32 v13, 22, v13
	v_add_u32_e32 v13, v12, v13
	v_and_b32_e32 v43, 0xfffffc00, v13
	v_lshlrev_b32_e32 v9, 4, v33
	v_sub_u32_e32 v58, v12, v43
	v_lshl_add_u32 v9, v14, 10, v9
	v_ashrrev_i32_e32 v39, 10, v13
	v_cmp_lt_i32_e32 vcc, 15, v58
	v_sub_u32_e32 v15, v12, v9
	v_addc_co_u32_e64 v12, s[22:23], 0, v39, vcc
	v_sub_u32_e32 v46, v12, v14
	v_cmp_lt_i32_e64 s[22:23], 15, v15
	s_and_saveexec_b64 s[52:53], s[22:23]
	s_cbranch_execz .LBB4_174
; %bb.171:                              ;   in Loop: Header=BB4_96 Depth=3
	s_trap 2
	ds_read_b64 v[12:13], v0
	v_add_u32_e32 v14, v9, v32
	v_ashrrev_i32_e32 v9, 31, v14
	s_mov_b64 s[54:55], 0
.LBB4_172:                              ;   Parent Loop BB4_53 Depth=1
                                        ;     Parent Loop BB4_90 Depth=2
                                        ;       Parent Loop BB4_96 Depth=3
                                        ; =>      This Inner Loop Header: Depth=4
	s_waitcnt lgkmcnt(0)
	v_add_co_u32_e64 v44, s[22:23], v12, v14
	v_addc_co_u32_e64 v45, s[22:23], v13, v9, s[22:23]
	global_load_dwordx4 v[48:51], v[44:45], off glc slc
	v_add_co_u32_e64 v14, s[22:23], v14, v29
	v_sub_u32_e32 v15, v15, v52
	v_addc_co_u32_e64 v9, s[22:23], v9, v62, s[22:23]
	v_cmp_gt_i32_e64 s[22:23], 16, v15
	v_sub_u32_e32 v46, v46, v30
	s_or_b64 s[54:55], s[22:23], s[54:55]
	s_waitcnt vmcnt(0)
	global_store_dwordx4 v[44:45], v[48:51], off glc slc
	s_andn2_b64 exec, exec, s[54:55]
	s_cbranch_execnz .LBB4_172
; %bb.173:                              ;   in Loop: Header=BB4_96 Depth=3
	s_or_b64 exec, exec, s[54:55]
	v_accvgpr_read_b32 v53, a23
.LBB4_174:                              ;   in Loop: Header=BB4_96 Depth=3
	s_or_b64 exec, exec, s[52:53]
	v_and_b32_e32 v12, 15, v37
	v_cndmask_b32_e32 v39, v58, v12, vcc
	v_cmp_ne_u32_e64 s[22:23], 0, v39
	s_mov_b64 s[52:53], 0
	v_mov_b32_e32 v15, 0
                                        ; implicit-def: $vgpr42
                                        ; implicit-def: $vgpr9
	s_and_saveexec_b64 s[54:55], s[22:23]
	s_cbranch_execz .LBB4_176
; %bb.175:                              ;   in Loop: Header=BB4_96 Depth=3
	v_sub_u32_e32 v9, v58, v12
	v_cndmask_b32_e32 v9, 0, v9, vcc
	v_cmp_lt_i32_e32 vcc, 0, v46
	v_add3_u32 v15, v43, v32, v9
	v_cndmask_b32_e32 v9, 0, v30, vcc
	v_sub_u32_e32 v9, v9, v46
	v_lshl_add_u32 v42, v9, 6, v33
	v_ashrrev_i32_e32 v9, 31, v42
	v_lshrrev_b32_e32 v9, 26, v9
	v_add_u32_e32 v9, v42, v9
	s_mov_b64 s[52:53], exec
	v_ashrrev_i32_e32 v9, 6, v9
.LBB4_176:                              ;   in Loop: Header=BB4_96 Depth=3
	s_or_b64 exec, exec, s[54:55]
	s_and_b64 s[52:53], s[52:53], exec
.LBB4_177:                              ;   in Loop: Header=BB4_96 Depth=3
	s_or_b64 exec, exec, s[50:51]
	s_and_saveexec_b64 s[22:23], s[52:53]
	s_cbranch_execz .LBB4_187
.LBB4_178:                              ;   in Loop: Header=BB4_96 Depth=3
	v_ashrrev_i32_e32 v12, 31, v39
	v_lshrrev_b32_e32 v12, 22, v12
	v_add_u32_e32 v12, v39, v12
	v_ashrrev_i32_e32 v58, 10, v12
	v_sub_u32_e32 v43, v58, v9
	v_ashrrev_i32_e32 v12, 31, v42
	v_cmp_lt_i32_e32 vcc, 0, v43
	v_lshrrev_b32_e32 v46, 26, v12
	s_and_saveexec_b64 s[50:51], vcc
	s_cbranch_execz .LBB4_182
; %bb.179:                              ;   in Loop: Header=BB4_96 Depth=3
	s_trap 2
	ds_read_b64 v[12:13], v0
	v_add_u32_e32 v14, v42, v46
	v_and_b32_e32 v14, 0xffffffc0, v14
	v_sub_u32_e32 v14, v42, v14
	v_lshlrev_b32_e32 v9, 10, v9
	v_add3_u32 v14, v15, v14, v9
	v_ashrrev_i32_e32 v9, 31, v14
	s_mov_b64 s[52:53], 0
	s_waitcnt lgkmcnt(0)
	v_pk_mov_b32 v[32:33], v[12:13], v[12:13] op_sel:[0,1]
.LBB4_180:                              ;   Parent Loop BB4_53 Depth=1
                                        ;     Parent Loop BB4_90 Depth=2
                                        ;       Parent Loop BB4_96 Depth=3
                                        ; =>      This Inner Loop Header: Depth=4
	v_add_co_u32_e32 v48, vcc, v14, v32
	v_addc_co_u32_e32 v49, vcc, v9, v33, vcc
	flat_load_ubyte v50, v[48:49] glc slc
	flat_load_ubyte v51, v[48:49] offset:64 glc slc
	flat_load_ubyte v44, v[48:49] offset:128 glc slc
	;; [unrolled: 1-line block ×15, first 2 shown]
	v_add_co_u32_e32 v48, vcc, v14, v12
	v_addc_co_u32_e32 v49, vcc, v9, v13, vcc
	v_add_co_u32_e32 v32, vcc, v32, v29
	v_addc_co_u32_e32 v33, vcc, v33, v62, vcc
	v_add_co_u32_e32 v12, vcc, v12, v29
	v_sub_u32_e32 v43, v43, v30
	v_addc_co_u32_e32 v13, vcc, v13, v62, vcc
	v_cmp_gt_i32_e32 vcc, 1, v43
	s_or_b64 s[52:53], vcc, s[52:53]
	s_waitcnt vmcnt(0) lgkmcnt(0)
	flat_store_byte v[48:49], v50 glc slc
	flat_store_byte v[48:49], v51 offset:64 glc slc
	flat_store_byte v[48:49], v44 offset:128 glc slc
	;; [unrolled: 1-line block ×15, first 2 shown]
	s_andn2_b64 exec, exec, s[52:53]
	s_cbranch_execnz .LBB4_180
; %bb.181:                              ;   in Loop: Header=BB4_96 Depth=3
	s_or_b64 exec, exec, s[52:53]
	v_accvgpr_read_b32 v53, a23
.LBB4_182:                              ;   in Loop: Header=BB4_96 Depth=3
	s_or_b64 exec, exec, s[50:51]
	v_lshlrev_b32_e32 v9, 10, v58
	v_cmp_ne_u32_e32 vcc, v39, v9
	s_and_saveexec_b64 s[50:51], vcc
	s_cbranch_execz .LBB4_186
; %bb.183:                              ;   in Loop: Header=BB4_96 Depth=3
	v_add_u32_e32 v1, v42, v46
	v_and_b32_e32 v1, 0xffffffc0, v1
	v_sub_u32_e32 v1, v42, v1
	v_lshlrev_b32_e32 v2, 6, v43
	v_sub_u32_e32 v1, v1, v2
	v_add_u32_e32 v9, v9, v1
	v_sub_u32_e32 v32, v39, v9
	v_cmp_lt_i32_e32 vcc, 0, v32
	s_and_b64 exec, exec, vcc
	s_cbranch_execz .LBB4_186
; %bb.184:                              ;   in Loop: Header=BB4_96 Depth=3
	s_trap 2
	ds_read_b64 v[12:13], v0
	v_add_u32_e32 v14, v9, v15
	v_ashrrev_i32_e32 v9, 31, v14
	s_mov_b64 s[52:53], 0
.LBB4_185:                              ;   Parent Loop BB4_53 Depth=1
                                        ;     Parent Loop BB4_90 Depth=2
                                        ;       Parent Loop BB4_96 Depth=3
                                        ; =>      This Inner Loop Header: Depth=4
	s_waitcnt lgkmcnt(0)
	v_add_co_u32_e32 v48, vcc, v12, v14
	v_addc_co_u32_e32 v49, vcc, v13, v9, vcc
	flat_load_ubyte v1, v[48:49] glc slc
	v_add_co_u32_e32 v14, vcc, v14, v54
	v_sub_u32_e32 v32, v32, v54
	v_addc_co_u32_e32 v9, vcc, v9, v21, vcc
	v_cmp_gt_i32_e32 vcc, 1, v32
	s_or_b64 s[52:53], vcc, s[52:53]
	s_waitcnt vmcnt(0) lgkmcnt(0)
	flat_store_byte v[48:49], v1 glc slc
	s_andn2_b64 exec, exec, s[52:53]
	s_cbranch_execnz .LBB4_185
.LBB4_186:                              ;   in Loop: Header=BB4_96 Depth=3
	s_or_b64 exec, exec, s[50:51]
.LBB4_187:                              ;   in Loop: Header=BB4_96 Depth=3
	s_or_b64 exec, exec, s[22:23]
.LBB4_188:                              ;   in Loop: Header=BB4_96 Depth=3
	s_and_saveexec_b64 s[22:23], s[6:7]
	s_cbranch_execz .LBB4_207
; %bb.189:                              ;   in Loop: Header=BB4_96 Depth=3
	s_and_saveexec_b64 vcc, s[28:29]
	s_xor_b64 s[50:51], exec, vcc
	s_cbranch_execz .LBB4_204
; %bb.190:                              ;   in Loop: Header=BB4_96 Depth=3
	s_and_saveexec_b64 s[52:53], s[12:13]
	s_cbranch_execz .LBB4_203
; %bb.191:                              ;   in Loop: Header=BB4_96 Depth=3
	s_mov_b64 s[56:57], exec
	v_mbcnt_lo_u32_b32 v1, s56, 0
	v_mbcnt_hi_u32_b32 v1, s57, v1
	v_cmp_eq_u32_e32 vcc, 0, v1
	s_waitcnt vmcnt(0) lgkmcnt(0)
	buffer_wbinvl1_vol
	s_and_saveexec_b64 s[54:55], vcc
	s_cbranch_execz .LBB4_193
; %bb.192:                              ;   in Loop: Header=BB4_96 Depth=3
	s_bcnt1_i32_b64 vcc_lo, s[56:57]
	v_mov_b32_e32 v12, vcc_lo
	v_mov_b32_e32 v13, v36
	ds_add_u64 v0, v[12:13]
	s_trap 2
.LBB4_193:                              ;   in Loop: Header=BB4_96 Depth=3
	s_or_b64 exec, exec, s[54:55]
	s_trap 2
	ds_read_b64 v[12:13], v0
	v_add_co_u32_e32 v10, vcc, v10, v30
	v_addc_co_u32_e32 v11, vcc, 0, v11, vcc
	s_waitcnt lgkmcnt(0)
	v_cmp_lt_u64_e32 vcc, v[12:13], v[10:11]
	s_and_saveexec_b64 s[54:55], vcc
	s_cbranch_execz .LBB4_202
; %bb.194:                              ;   in Loop: Header=BB4_96 Depth=3
	s_mov_b32 s75, 0
	s_mov_b64 s[56:57], 0
                                        ; implicit-def: $sgpr58_sgpr59
                                        ; implicit-def: $sgpr60_sgpr61
	s_branch .LBB4_196
.LBB4_195:                              ;   in Loop: Header=BB4_196 Depth=4
	s_or_b64 exec, exec, s[64:65]
	s_and_b64 vcc, exec, vcc
	s_or_b64 s[56:57], vcc, s[56:57]
	s_andn2_b64 vcc, s[58:59], exec
	s_and_b64 s[58:59], s[60:61], exec
	s_or_b64 s[58:59], vcc, s[58:59]
	s_andn2_b64 exec, exec, s[56:57]
	s_cbranch_execz .LBB4_200
.LBB4_196:                              ;   Parent Loop BB4_53 Depth=1
                                        ;     Parent Loop BB4_90 Depth=2
                                        ;       Parent Loop BB4_96 Depth=3
                                        ; =>      This Inner Loop Header: Depth=4
	s_add_i32 s75, s75, 1
	s_cmpk_lg_i32 s75, 0x2710
	s_cselect_b64 s[62:63], -1, 0
	s_and_b64 vcc, exec, s[62:63]
                                        ; implicit-def: $sgpr64_sgpr65
	s_cbranch_vccnz .LBB4_198
; %bb.197:                              ;   in Loop: Header=BB4_196 Depth=4
	s_trap 2
	ds_read_b64 v[12:13], v0
	s_andn2_b64 s[62:63], s[62:63], exec
	s_mov_b32 s75, 0
	s_mov_b64 s[64:65], -1
	s_waitcnt lgkmcnt(0)
	flat_load_dword v1, v[12:13] glc
	s_waitcnt vmcnt(0) lgkmcnt(0)
	buffer_invl2
	buffer_wbinvl1_vol
	v_cmp_eq_u32_e32 vcc, 0, v1
	s_and_b64 vcc, vcc, exec
	s_or_b64 s[62:63], s[62:63], vcc
.LBB4_198:                              ;   in Loop: Header=BB4_196 Depth=4
	s_andn2_b64 s[60:61], s[60:61], exec
	s_and_b64 s[64:65], s[64:65], exec
	s_mov_b64 vcc, -1
	s_or_b64 s[60:61], s[60:61], s[64:65]
	s_and_saveexec_b64 s[64:65], s[62:63]
	s_cbranch_execz .LBB4_195
; %bb.199:                              ;   in Loop: Header=BB4_196 Depth=4
	s_sleep 1
	s_trap 2
	ds_read_b64 v[12:13], v0
	s_andn2_b64 s[60:61], s[60:61], exec
	s_waitcnt lgkmcnt(0)
	v_cmp_ge_u64_e32 vcc, v[12:13], v[10:11]
	s_orn2_b64 vcc, vcc, exec
	s_branch .LBB4_195
.LBB4_200:                              ;   in Loop: Header=BB4_96 Depth=3
	s_or_b64 exec, exec, s[56:57]
	s_and_saveexec_b64 vcc, s[58:59]
	s_xor_b64 vcc, exec, vcc
	s_cbranch_execz .LBB4_202
; %bb.201:                              ;   in Loop: Header=BB4_96 Depth=3
	ds_write_b32 v0, v31
	s_trap 2
.LBB4_202:                              ;   in Loop: Header=BB4_96 Depth=3
	s_or_b64 exec, exec, s[54:55]
	;;#ASMSTART
	s_wakeup
	;;#ASMEND
.LBB4_203:                              ;   in Loop: Header=BB4_96 Depth=3
	s_or_b64 exec, exec, s[52:53]
.LBB4_204:                              ;   in Loop: Header=BB4_96 Depth=3
	s_andn2_saveexec_b64 vcc, s[50:51]
	s_cbranch_execz .LBB4_206
; %bb.205:                              ;   in Loop: Header=BB4_96 Depth=3
	s_waitcnt vmcnt(0) lgkmcnt(0)
	buffer_wbinvl1_vol
	s_barrier
.LBB4_206:                              ;   in Loop: Header=BB4_96 Depth=3
	s_or_b64 exec, exec, vcc
.LBB4_207:                              ;   in Loop: Header=BB4_96 Depth=3
	s_or_b64 exec, exec, s[22:23]
	v_and_b32_e32 v9, 16, v55
	v_cmp_lt_i32_e32 vcc, 0, v37
	v_cmp_ne_u32_e64 s[22:23], 0, v9
	s_and_b64 vcc, s[22:23], vcc
	s_and_saveexec_b64 s[22:23], vcc
	s_cbranch_execz .LBB4_209
; %bb.208:                              ;   in Loop: Header=BB4_96 Depth=3
	s_waitcnt vmcnt(0) lgkmcnt(0)
	buffer_wbinvl1_vol
.LBB4_209:                              ;   in Loop: Header=BB4_96 Depth=3
	s_or_b64 exec, exec, s[22:23]
	v_cmp_ne_u32_e32 vcc, 0, v9
	s_and_saveexec_b64 s[22:23], vcc
	s_cbranch_execz .LBB4_95
; %bb.210:                              ;   in Loop: Header=BB4_96 Depth=3
	s_and_saveexec_b64 vcc, s[20:21]
	s_cbranch_execz .LBB4_94
; %bb.211:                              ;   in Loop: Header=BB4_96 Depth=3
	flat_store_dword v[24:25], v31
	s_branch .LBB4_94
.LBB4_212:                              ;   in Loop: Header=BB4_90 Depth=2
	s_or_b64 exec, exec, s[46:47]
	s_or_b64 exec, exec, s[44:45]
	v_cmp_gt_i32_e32 vcc, 2, v9
	s_and_saveexec_b64 s[44:45], vcc
	s_cbranch_execz .LBB4_92
.LBB4_213:                              ;   in Loop: Header=BB4_90 Depth=2
	v_cmp_eq_u32_e64 s[22:23], 0, v9
	s_mov_b64 s[46:47], 0
	s_branch .LBB4_216
.LBB4_214:                              ;   in Loop: Header=BB4_216 Depth=3
	s_or_b64 exec, exec, vcc
	v_add_co_u32_e32 v16, vcc, 2, v16
	v_addc_co_u32_e32 v17, vcc, 0, v17, vcc
	flat_store_dwordx2 v[18:19], v[16:17]
.LBB4_215:                              ;   in Loop: Header=BB4_216 Depth=3
	s_or_b64 exec, exec, s[22:23]
	v_add_u32_e32 v38, v8, v38
	s_mov_b64 s[22:23], 0
	s_andn2_b64 exec, exec, s[46:47]
	s_cbranch_execz .LBB4_262
.LBB4_216:                              ;   Parent Loop BB4_53 Depth=1
                                        ;     Parent Loop BB4_90 Depth=2
                                        ; =>    This Loop Header: Depth=3
                                        ;         Child Loop BB4_222 Depth 4
                                        ;         Child Loop BB4_246 Depth 4
	v_and_b32_e32 v1, 8, v55
	s_mov_b64 s[50:51], -1
	v_cmp_ne_u32_e32 vcc, 0, v1
	s_and_saveexec_b64 s[48:49], vcc
	s_cbranch_execz .LBB4_228
; %bb.217:                              ;   in Loop: Header=BB4_216 Depth=3
	v_add_co_u32_e32 v14, vcc, 8, v26
	v_addc_co_u32_e32 v15, vcc, 0, v27, vcc
	v_add_co_u32_e32 v12, vcc, 2, v16
	v_addc_co_u32_e32 v13, vcc, 0, v17, vcc
	v_cmp_lt_u64_e32 vcc, v[14:15], v[12:13]
	v_mov_b32_e32 v9, 1
	s_and_saveexec_b64 s[50:51], vcc
	s_cbranch_execz .LBB4_227
; %bb.218:                              ;   in Loop: Header=BB4_216 Depth=3
	s_mov_b64 s[52:53], 0
	v_mov_b32_e32 v9, 0
                                        ; implicit-def: $sgpr54_sgpr55
	s_branch .LBB4_222
.LBB4_219:                              ;   in Loop: Header=BB4_222 Depth=4
	s_or_b64 exec, exec, s[62:63]
	v_mov_b32_e32 v14, 0
	s_orn2_b64 s[60:61], s[60:61], exec
.LBB4_220:                              ;   in Loop: Header=BB4_222 Depth=4
	s_or_b64 exec, exec, s[58:59]
	s_andn2_b64 vcc, s[54:55], exec
	s_and_b64 s[54:55], s[60:61], exec
	s_or_b64 s[54:55], vcc, s[54:55]
	v_mov_b32_e32 v9, v14
.LBB4_221:                              ;   in Loop: Header=BB4_222 Depth=4
	s_or_b64 exec, exec, s[56:57]
	s_waitcnt vmcnt(0) lgkmcnt(0)
	v_add_co_u32_e32 v14, vcc, 8, v26
	v_addc_co_u32_e32 v15, vcc, 0, v27, vcc
	v_cmp_ge_u64_e32 vcc, v[14:15], v[12:13]
	s_xor_b64 s[56:57], s[54:55], -1
	s_or_b64 vcc, s[56:57], vcc
	s_and_b64 vcc, exec, vcc
	s_or_b64 s[52:53], vcc, s[52:53]
	s_andn2_b64 exec, exec, s[52:53]
	s_cbranch_execz .LBB4_226
.LBB4_222:                              ;   Parent Loop BB4_53 Depth=1
                                        ;     Parent Loop BB4_90 Depth=2
                                        ;       Parent Loop BB4_216 Depth=3
                                        ; =>      This Inner Loop Header: Depth=4
	s_sleep 1
	flat_load_dwordx2 v[26:27], v[18:19] glc
	v_and_b32_e32 v1, 64, v55
	v_cmp_eq_u32_e32 vcc, 0, v1
	s_andn2_b64 s[54:55], s[54:55], exec
	s_and_saveexec_b64 s[56:57], vcc
	s_cbranch_execz .LBB4_221
; %bb.223:                              ;   in Loop: Header=BB4_222 Depth=4
	v_add_u32_e32 v14, 1, v9
	v_cmp_lt_i32_e32 vcc, s71, v9
	s_mov_b64 s[60:61], -1
	s_and_saveexec_b64 s[58:59], vcc
	s_cbranch_execz .LBB4_220
; %bb.224:                              ;   in Loop: Header=BB4_222 Depth=4
	s_trap 2
	ds_read_b64 v[14:15], v0
	s_waitcnt vmcnt(0) lgkmcnt(0)
	flat_load_dword v9, v[14:15] glc
	s_waitcnt vmcnt(0) lgkmcnt(0)
	buffer_invl2
	buffer_wbinvl1_vol
	v_cmp_ne_u32_e32 vcc, 0, v9
	s_and_saveexec_b64 s[62:63], vcc
	s_cbranch_execz .LBB4_219
; %bb.225:                              ;   in Loop: Header=BB4_222 Depth=4
	v_or_b32_e32 v55, 64, v55
	s_xor_b64 s[60:61], exec, -1
	ds_write_b32 v0, v9
	s_trap 2
	s_branch .LBB4_219
.LBB4_226:                              ;   in Loop: Header=BB4_216 Depth=3
	s_or_b64 exec, exec, s[52:53]
	v_and_b32_e32 v9, 8, v55
.LBB4_227:                              ;   in Loop: Header=BB4_216 Depth=3
	s_or_b64 exec, exec, s[50:51]
	v_cmp_eq_u32_e32 vcc, 0, v9
	s_orn2_b64 s[50:51], vcc, exec
	;;#ASMSTART
	s_wakeup
	;;#ASMEND
.LBB4_228:                              ;   in Loop: Header=BB4_216 Depth=3
	s_or_b64 exec, exec, s[48:49]
	s_xor_b64 s[22:23], s[22:23], -1
	s_and_b64 s[22:23], exec, s[22:23]
	s_or_b64 s[46:47], s[22:23], s[46:47]
	v_sub_u32_e32 v1, v40, v38
	s_xor_b64 s[22:23], s[50:51], -1
	v_min_i32_e32 v8, v8, v1
	s_and_saveexec_b64 s[48:49], s[22:23]
	s_cbranch_execz .LBB4_238
; %bb.229:                              ;   in Loop: Header=BB4_216 Depth=3
	v_and_b32_e32 v1, 0x100, v55
	v_cmp_ne_u32_e32 vcc, 0, v1
	v_and_b32_e32 v32, 7, v16
	s_mov_b64 s[22:23], -1
                                        ; implicit-def: $vgpr12_vgpr13
	s_and_saveexec_b64 s[50:51], vcc
	s_cbranch_execz .LBB4_233
; %bb.230:                              ;   in Loop: Header=BB4_216 Depth=3
	v_mad_u64_u32 v[14:15], s[22:23], v32, 24, v[4:5]
	flat_load_dword v1, v[14:15]
	v_ashrrev_i32_e32 v9, 31, v8
	flat_store_dwordx2 v[14:15], v[8:9] offset:8
                                        ; implicit-def: $vgpr12_vgpr13
	s_waitcnt vmcnt(0) lgkmcnt(0)
	v_cmp_ne_u32_e32 vcc, 1, v1
	v_cmp_eq_u32_e64 s[22:23], 1, v1
	s_and_saveexec_b64 s[52:53], s[22:23]
	s_cbranch_execz .LBB4_232
; %bb.231:                              ;   in Loop: Header=BB4_216 Depth=3
	flat_load_dword v12, v[14:15] offset:4 glc
	s_waitcnt vmcnt(0) lgkmcnt(0)
	v_ashrrev_i32_e32 v13, 31, v12
.LBB4_232:                              ;   in Loop: Header=BB4_216 Depth=3
	s_or_b64 exec, exec, s[52:53]
	s_orn2_b64 s[22:23], vcc, exec
.LBB4_233:                              ;   in Loop: Header=BB4_216 Depth=3
	s_or_b64 exec, exec, s[50:51]
	s_and_saveexec_b64 vcc, s[22:23]
; %bb.234:                              ;   in Loop: Header=BB4_216 Depth=3
	v_mad_i64_i32 v[12:13], s[22:23], v32, v20, 0
; %bb.235:                              ;   in Loop: Header=BB4_216 Depth=3
	s_or_b64 exec, exec, vcc
	v_add_co_u32_e32 v12, vcc, v22, v12
	v_addc_co_u32_e32 v13, vcc, v23, v13, vcc
	v_and_b32_e32 v1, 0x2000, v55
	v_cmp_ne_u32_e32 vcc, 0, v1
	ds_write_b64 v0, v[12:13] offset:784
	s_and_saveexec_b64 s[22:23], vcc
	s_cbranch_execz .LBB4_237
; %bb.236:                              ;   in Loop: Header=BB4_216 Depth=3
	ds_read_b64 v[12:13], v0 offset:584
	s_waitcnt lgkmcnt(0)
	v_add_co_u32_e32 v12, vcc, 1, v12
	v_addc_co_u32_e32 v13, vcc, 0, v13, vcc
	ds_write_b64 v0, v[12:13] offset:584
.LBB4_237:                              ;   in Loop: Header=BB4_216 Depth=3
	s_or_b64 exec, exec, s[22:23]
	v_add_co_u32_e32 v16, vcc, 2, v16
	v_addc_co_u32_e32 v17, vcc, 0, v17, vcc
.LBB4_238:                              ;   in Loop: Header=BB4_216 Depth=3
	s_or_b64 exec, exec, s[48:49]
	s_and_saveexec_b64 s[22:23], s[6:7]
	s_cbranch_execz .LBB4_257
; %bb.239:                              ;   in Loop: Header=BB4_216 Depth=3
	s_and_saveexec_b64 vcc, s[28:29]
	s_xor_b64 s[48:49], exec, vcc
	s_cbranch_execz .LBB4_254
; %bb.240:                              ;   in Loop: Header=BB4_216 Depth=3
	s_and_saveexec_b64 s[50:51], s[12:13]
	s_cbranch_execz .LBB4_253
; %bb.241:                              ;   in Loop: Header=BB4_216 Depth=3
	s_mov_b64 s[54:55], exec
	v_mbcnt_lo_u32_b32 v1, s54, 0
	v_mbcnt_hi_u32_b32 v1, s55, v1
	v_cmp_eq_u32_e32 vcc, 0, v1
	s_waitcnt vmcnt(0) lgkmcnt(0)
	buffer_wbinvl1_vol
	s_and_saveexec_b64 s[52:53], vcc
	s_cbranch_execz .LBB4_243
; %bb.242:                              ;   in Loop: Header=BB4_216 Depth=3
	s_bcnt1_i32_b64 vcc_lo, s[54:55]
	v_mov_b32_e32 v12, vcc_lo
	v_mov_b32_e32 v13, v36
	ds_add_u64 v0, v[12:13]
	s_trap 2
.LBB4_243:                              ;   in Loop: Header=BB4_216 Depth=3
	s_or_b64 exec, exec, s[52:53]
	s_trap 2
	ds_read_b64 v[12:13], v0
	v_add_co_u32_e32 v10, vcc, v10, v30
	v_addc_co_u32_e32 v11, vcc, 0, v11, vcc
	s_waitcnt lgkmcnt(0)
	v_cmp_lt_u64_e32 vcc, v[12:13], v[10:11]
	s_and_saveexec_b64 s[52:53], vcc
	s_cbranch_execz .LBB4_252
; %bb.244:                              ;   in Loop: Header=BB4_216 Depth=3
	s_mov_b32 s64, 0
	s_mov_b64 s[54:55], 0
                                        ; implicit-def: $sgpr56_sgpr57
                                        ; implicit-def: $sgpr58_sgpr59
	s_branch .LBB4_246
.LBB4_245:                              ;   in Loop: Header=BB4_246 Depth=4
	s_or_b64 exec, exec, s[62:63]
	s_and_b64 vcc, exec, vcc
	s_or_b64 s[54:55], vcc, s[54:55]
	s_andn2_b64 vcc, s[56:57], exec
	s_and_b64 s[56:57], s[58:59], exec
	s_or_b64 s[56:57], vcc, s[56:57]
	s_andn2_b64 exec, exec, s[54:55]
	s_cbranch_execz .LBB4_250
.LBB4_246:                              ;   Parent Loop BB4_53 Depth=1
                                        ;     Parent Loop BB4_90 Depth=2
                                        ;       Parent Loop BB4_216 Depth=3
                                        ; =>      This Inner Loop Header: Depth=4
	s_add_i32 s64, s64, 1
	s_cmpk_lg_i32 s64, 0x2710
	s_cselect_b64 s[60:61], -1, 0
	s_and_b64 vcc, exec, s[60:61]
                                        ; implicit-def: $sgpr62_sgpr63
	s_cbranch_vccnz .LBB4_248
; %bb.247:                              ;   in Loop: Header=BB4_246 Depth=4
	s_trap 2
	ds_read_b64 v[12:13], v0
	s_andn2_b64 s[60:61], s[60:61], exec
	s_mov_b32 s64, 0
	s_mov_b64 s[62:63], -1
	s_waitcnt lgkmcnt(0)
	flat_load_dword v1, v[12:13] glc
	s_waitcnt vmcnt(0) lgkmcnt(0)
	buffer_invl2
	buffer_wbinvl1_vol
	v_cmp_eq_u32_e32 vcc, 0, v1
	s_and_b64 vcc, vcc, exec
	s_or_b64 s[60:61], s[60:61], vcc
.LBB4_248:                              ;   in Loop: Header=BB4_246 Depth=4
	s_andn2_b64 s[58:59], s[58:59], exec
	s_and_b64 s[62:63], s[62:63], exec
	s_mov_b64 vcc, -1
	s_or_b64 s[58:59], s[58:59], s[62:63]
	s_and_saveexec_b64 s[62:63], s[60:61]
	s_cbranch_execz .LBB4_245
; %bb.249:                              ;   in Loop: Header=BB4_246 Depth=4
	s_sleep 1
	s_trap 2
	ds_read_b64 v[12:13], v0
	s_andn2_b64 s[58:59], s[58:59], exec
	s_waitcnt lgkmcnt(0)
	v_cmp_ge_u64_e32 vcc, v[12:13], v[10:11]
	s_orn2_b64 vcc, vcc, exec
	s_branch .LBB4_245
.LBB4_250:                              ;   in Loop: Header=BB4_216 Depth=3
	s_or_b64 exec, exec, s[54:55]
	s_and_saveexec_b64 vcc, s[56:57]
	s_xor_b64 vcc, exec, vcc
	s_cbranch_execz .LBB4_252
; %bb.251:                              ;   in Loop: Header=BB4_216 Depth=3
	ds_write_b32 v0, v31
	s_trap 2
.LBB4_252:                              ;   in Loop: Header=BB4_216 Depth=3
	s_or_b64 exec, exec, s[52:53]
	;;#ASMSTART
	s_wakeup
	;;#ASMEND
.LBB4_253:                              ;   in Loop: Header=BB4_216 Depth=3
	s_or_b64 exec, exec, s[50:51]
.LBB4_254:                              ;   in Loop: Header=BB4_216 Depth=3
	s_andn2_saveexec_b64 vcc, s[48:49]
	s_cbranch_execz .LBB4_256
; %bb.255:                              ;   in Loop: Header=BB4_216 Depth=3
	s_waitcnt vmcnt(0) lgkmcnt(0)
	buffer_wbinvl1_vol
	s_barrier
.LBB4_256:                              ;   in Loop: Header=BB4_216 Depth=3
	s_or_b64 exec, exec, vcc
.LBB4_257:                              ;   in Loop: Header=BB4_216 Depth=3
	s_or_b64 exec, exec, s[22:23]
	s_trap 2
	ds_read_b32 v1, v0
	v_cmp_lt_i32_e32 vcc, 0, v8
	v_and_b32_e32 v9, 16, v55
	s_waitcnt lgkmcnt(0)
	v_readfirstlane_b32 s22, v1
	s_cmp_eq_u32 s22, 0
	s_cselect_b64 s[22:23], -1, 0
	s_and_b64 s[22:23], vcc, s[22:23]
	v_cmp_ne_u32_e32 vcc, 0, v9
	s_and_b64 vcc, vcc, s[22:23]
	s_and_saveexec_b64 s[22:23], vcc
	s_cbranch_execz .LBB4_259
; %bb.258:                              ;   in Loop: Header=BB4_216 Depth=3
	s_waitcnt vmcnt(0)
	buffer_wbinvl1_vol
.LBB4_259:                              ;   in Loop: Header=BB4_216 Depth=3
	s_or_b64 exec, exec, s[22:23]
	v_cmp_ne_u32_e32 vcc, 0, v9
	s_and_saveexec_b64 s[22:23], vcc
	s_cbranch_execz .LBB4_215
; %bb.260:                              ;   in Loop: Header=BB4_216 Depth=3
	s_and_saveexec_b64 vcc, s[20:21]
	s_cbranch_execz .LBB4_214
; %bb.261:                              ;   in Loop: Header=BB4_216 Depth=3
	flat_store_dword v[24:25], v31
	s_branch .LBB4_214
.LBB4_262:                              ;   in Loop: Header=BB4_90 Depth=2
	s_or_b64 exec, exec, s[46:47]
	s_or_b64 exec, exec, s[44:45]
	s_andn2_b64 vcc, exec, s[40:41]
	s_cbranch_vccnz .LBB4_445
.LBB4_263:                              ;   in Loop: Header=BB4_90 Depth=2
	s_mov_b32 s74, 0
	s_branch .LBB4_266
.LBB4_264:                              ;   in Loop: Header=BB4_266 Depth=3
	s_or_b64 exec, exec, s[46:47]
.LBB4_265:                              ;   in Loop: Header=BB4_266 Depth=3
	s_or_b64 exec, exec, s[44:45]
	s_add_i32 s74, s74, 1
	s_cmp_ge_i32 s74, s73
	s_cbranch_scc1 .LBB4_445
.LBB4_266:                              ;   Parent Loop BB4_53 Depth=1
                                        ;     Parent Loop BB4_90 Depth=2
                                        ; =>    This Loop Header: Depth=3
                                        ;         Child Loop BB4_269 Depth 4
                                        ;           Child Loop BB4_277 Depth 5
                                        ;           Child Loop BB4_305 Depth 5
	;; [unrolled: 1-line block ×8, first 2 shown]
                                        ;         Child Loop BB4_394 Depth 4
                                        ;           Child Loop BB4_400 Depth 5
                                        ;           Child Loop BB4_428 Depth 5
	v_mov_b32_e32 v9, 0
	v_accvgpr_read_b32 v8, a33
	v_mov_b32_e32 v42, 0
	s_and_saveexec_b64 s[44:45], s[42:43]
	s_cbranch_execz .LBB4_391
; %bb.267:                              ;   in Loop: Header=BB4_266 Depth=3
	s_mov_b32 s75, 1
	s_mov_b64 s[48:49], -1
	s_mov_b64 s[46:47], 0
	v_mov_b32_e32 v42, 0
	v_accvgpr_read_b32 v8, a33
	s_branch .LBB4_269
.LBB4_268:                              ;   in Loop: Header=BB4_269 Depth=4
	s_or_b64 exec, exec, s[22:23]
	v_add_u32_e32 v42, v8, v42
	v_cmp_ge_i32_e32 vcc, v42, v40
	s_xor_b64 s[22:23], s[48:49], -1
	s_or_b64 s[22:23], s[22:23], vcc
	s_and_b64 s[22:23], exec, s[22:23]
	s_or_b64 s[46:47], s[22:23], s[46:47]
	s_mov_b64 s[48:49], 0
	v_mov_b32_e32 v9, s75
	s_mov_b32 s75, 2
	s_andn2_b64 exec, exec, s[46:47]
	s_cbranch_execz .LBB4_390
.LBB4_269:                              ;   Parent Loop BB4_53 Depth=1
                                        ;     Parent Loop BB4_90 Depth=2
                                        ;       Parent Loop BB4_266 Depth=3
                                        ; =>      This Loop Header: Depth=4
                                        ;           Child Loop BB4_277 Depth 5
                                        ;           Child Loop BB4_305 Depth 5
                                        ;           Child Loop BB4_324 Depth 5
                                        ;           Child Loop BB4_344 Depth 5
                                        ;           Child Loop BB4_349 Depth 5
                                        ;           Child Loop BB4_357 Depth 5
                                        ;           Child Loop BB4_362 Depth 5
                                        ;           Child Loop BB4_373 Depth 5
	s_and_saveexec_b64 s[22:23], s[4:5]
	s_cbranch_execz .LBB4_271
; %bb.270:                              ;   in Loop: Header=BB4_269 Depth=4
	v_mov_b32_e32 v37, v36
	ds_write_b64 v0, v[36:37]
	s_trap 2
.LBB4_271:                              ;   in Loop: Header=BB4_269 Depth=4
	s_or_b64 exec, exec, s[22:23]
	v_and_b32_e32 v1, 12, v55
	v_cmp_ne_u32_e32 vcc, 0, v1
	s_mov_b64 s[50:51], -1
	s_and_saveexec_b64 s[22:23], vcc
	s_cbranch_execz .LBB4_283
; %bb.272:                              ;   in Loop: Header=BB4_269 Depth=4
	v_and_b32_e32 v12, 8, v55
	v_add_co_u32_e32 v32, vcc, v26, v12
	v_addc_co_u32_e32 v33, vcc, 0, v27, vcc
	v_add_co_u32_e32 v14, vcc, 2, v16
	v_addc_co_u32_e32 v15, vcc, 0, v17, vcc
	v_cmp_lt_u64_e32 vcc, v[32:33], v[14:15]
	v_mov_b32_e32 v9, 1
	s_and_saveexec_b64 s[50:51], vcc
	s_cbranch_execz .LBB4_282
; %bb.273:                              ;   in Loop: Header=BB4_269 Depth=4
	s_mov_b64 s[52:53], 0
	v_mov_b32_e32 v9, 0
                                        ; implicit-def: $sgpr54_sgpr55
	s_branch .LBB4_277
.LBB4_274:                              ;   in Loop: Header=BB4_277 Depth=5
	s_or_b64 exec, exec, s[62:63]
	v_mov_b32_e32 v13, 0
	s_orn2_b64 s[60:61], s[60:61], exec
.LBB4_275:                              ;   in Loop: Header=BB4_277 Depth=5
	s_or_b64 exec, exec, s[58:59]
	s_andn2_b64 vcc, s[54:55], exec
	s_and_b64 s[54:55], s[60:61], exec
	s_or_b64 s[54:55], vcc, s[54:55]
	v_mov_b32_e32 v9, v13
.LBB4_276:                              ;   in Loop: Header=BB4_277 Depth=5
	s_or_b64 exec, exec, s[56:57]
	s_waitcnt vmcnt(0) lgkmcnt(0)
	v_add_co_u32_e32 v32, vcc, v26, v12
	v_addc_co_u32_e32 v33, vcc, 0, v27, vcc
	v_cmp_ge_u64_e32 vcc, v[32:33], v[14:15]
	s_xor_b64 s[56:57], s[54:55], -1
	s_or_b64 vcc, s[56:57], vcc
	s_and_b64 vcc, exec, vcc
	s_or_b64 s[52:53], vcc, s[52:53]
	s_andn2_b64 exec, exec, s[52:53]
	s_cbranch_execz .LBB4_281
.LBB4_277:                              ;   Parent Loop BB4_53 Depth=1
                                        ;     Parent Loop BB4_90 Depth=2
                                        ;       Parent Loop BB4_266 Depth=3
                                        ;         Parent Loop BB4_269 Depth=4
                                        ; =>        This Inner Loop Header: Depth=5
	s_sleep 1
	flat_load_dwordx2 v[26:27], v[18:19] glc
	v_and_b32_e32 v1, 64, v55
	v_cmp_eq_u32_e32 vcc, 0, v1
	s_andn2_b64 s[54:55], s[54:55], exec
	s_and_saveexec_b64 s[56:57], vcc
	s_cbranch_execz .LBB4_276
; %bb.278:                              ;   in Loop: Header=BB4_277 Depth=5
	v_add_u32_e32 v13, 1, v9
	v_cmp_lt_i32_e32 vcc, s71, v9
	s_mov_b64 s[60:61], -1
	s_and_saveexec_b64 s[58:59], vcc
	s_cbranch_execz .LBB4_275
; %bb.279:                              ;   in Loop: Header=BB4_277 Depth=5
	s_trap 2
	ds_read_b64 v[32:33], v0
	s_waitcnt vmcnt(0) lgkmcnt(0)
	flat_load_dword v9, v[32:33] glc
	s_waitcnt vmcnt(0) lgkmcnt(0)
	buffer_invl2
	buffer_wbinvl1_vol
	v_cmp_ne_u32_e32 vcc, 0, v9
	s_and_saveexec_b64 s[62:63], vcc
	s_cbranch_execz .LBB4_274
; %bb.280:                              ;   in Loop: Header=BB4_277 Depth=5
	v_or_b32_e32 v55, 64, v55
	s_xor_b64 s[60:61], exec, -1
	ds_write_b32 v0, v9
	s_trap 2
	s_branch .LBB4_274
.LBB4_281:                              ;   in Loop: Header=BB4_269 Depth=4
	s_or_b64 exec, exec, s[52:53]
	v_and_b32_e32 v9, 12, v55
.LBB4_282:                              ;   in Loop: Header=BB4_269 Depth=4
	s_or_b64 exec, exec, s[50:51]
	v_cmp_eq_u32_e32 vcc, 0, v9
	s_orn2_b64 s[50:51], vcc, exec
	;;#ASMSTART
	s_wakeup
	;;#ASMEND
.LBB4_283:                              ;   in Loop: Header=BB4_269 Depth=4
	s_or_b64 exec, exec, s[22:23]
	v_sub_u32_e32 v1, v40, v42
	s_xor_b64 s[22:23], s[50:51], -1
	v_min_i32_e32 v8, v8, v1
	s_and_saveexec_b64 s[50:51], s[22:23]
	s_cbranch_execz .LBB4_297
; %bb.284:                              ;   in Loop: Header=BB4_269 Depth=4
	v_and_b32_e32 v1, 0x108, v55
	v_cmp_ne_u32_e32 vcc, s72, v1
	v_and_b32_e32 v12, 7, v16
	s_and_saveexec_b64 s[22:23], vcc
	s_xor_b64 s[22:23], exec, s[22:23]
                                        ; implicit-def: $vgpr14_vgpr15
; %bb.285:                              ;   in Loop: Header=BB4_269 Depth=4
	v_mov_b32_e32 v15, v36
; %bb.286:                              ;   in Loop: Header=BB4_269 Depth=4
	s_andn2_saveexec_b64 s[22:23], s[22:23]
	s_cbranch_execz .LBB4_288
; %bb.287:                              ;   in Loop: Header=BB4_269 Depth=4
	v_mov_b32_e32 v15, v36
	v_mad_u64_u32 v[32:33], vcc, v12, 24, v[4:5]
	v_ashrrev_i32_e32 v9, 31, v8
	flat_store_dwordx2 v[32:33], v[8:9] offset:8
.LBB4_288:                              ;   in Loop: Header=BB4_269 Depth=4
	s_or_b64 exec, exec, s[22:23]
	v_and_b32_e32 v1, 0x100, v55
	v_cmp_ne_u32_e32 vcc, 0, v1
	s_mov_b64 s[22:23], -1
                                        ; implicit-def: $vgpr32_vgpr33
	s_and_saveexec_b64 s[52:53], vcc
	s_cbranch_execz .LBB4_292
; %bb.289:                              ;   in Loop: Header=BB4_269 Depth=4
	v_mad_u64_u32 v[38:39], s[22:23], v12, 24, v[4:5]
	v_mov_b32_e32 v14, v39
	v_mad_u64_u32 v[32:33], s[22:23], v15, 24, v[14:15]
	v_mov_b32_e32 v39, v32
	flat_load_dword v1, v[38:39]
                                        ; implicit-def: $vgpr32_vgpr33
	s_waitcnt vmcnt(0) lgkmcnt(0)
	v_cmp_ne_u32_e32 vcc, 1, v1
	v_cmp_eq_u32_e64 s[22:23], 1, v1
	s_and_saveexec_b64 s[54:55], s[22:23]
	s_cbranch_execz .LBB4_291
; %bb.290:                              ;   in Loop: Header=BB4_269 Depth=4
	flat_load_dword v32, v[38:39] offset:4 glc
	s_waitcnt vmcnt(0) lgkmcnt(0)
	v_ashrrev_i32_e32 v33, 31, v32
.LBB4_291:                              ;   in Loop: Header=BB4_269 Depth=4
	s_or_b64 exec, exec, s[54:55]
	s_orn2_b64 s[22:23], vcc, exec
.LBB4_292:                              ;   in Loop: Header=BB4_269 Depth=4
	s_or_b64 exec, exec, s[52:53]
	s_and_saveexec_b64 vcc, s[22:23]
; %bb.293:                              ;   in Loop: Header=BB4_269 Depth=4
	v_mul_lo_u32 v1, v15, v20
	v_mul_lo_u32 v2, v12, v53
	v_mad_u64_u32 v[32:33], s[22:23], v12, v20, 0
	v_add3_u32 v33, v33, v2, v1
; %bb.294:                              ;   in Loop: Header=BB4_269 Depth=4
	s_or_b64 exec, exec, vcc
	v_add_co_u32_e32 v12, vcc, v22, v32
	v_addc_co_u32_e32 v13, vcc, v23, v33, vcc
	v_and_b32_e32 v1, 0x2000, v55
	v_cmp_ne_u32_e32 vcc, 0, v1
	s_trap 2
	ds_write_b64 v0, v[12:13]
	s_and_saveexec_b64 s[22:23], vcc
	s_cbranch_execz .LBB4_296
; %bb.295:                              ;   in Loop: Header=BB4_269 Depth=4
	ds_read_b64 v[12:13], v0 offset:584
	s_waitcnt lgkmcnt(0)
	v_add_co_u32_e32 v12, vcc, 1, v12
	v_addc_co_u32_e32 v13, vcc, 0, v13, vcc
	ds_write_b64 v0, v[12:13] offset:584
.LBB4_296:                              ;   in Loop: Header=BB4_269 Depth=4
	s_or_b64 exec, exec, s[22:23]
	v_add_co_u32_e32 v16, vcc, 2, v16
	v_addc_co_u32_e32 v17, vcc, 0, v17, vcc
.LBB4_297:                              ;   in Loop: Header=BB4_269 Depth=4
	s_or_b64 exec, exec, s[50:51]
	s_and_saveexec_b64 s[22:23], s[6:7]
	s_cbranch_execz .LBB4_316
; %bb.298:                              ;   in Loop: Header=BB4_269 Depth=4
	s_and_saveexec_b64 vcc, s[28:29]
	s_xor_b64 s[50:51], exec, vcc
	s_cbranch_execz .LBB4_313
; %bb.299:                              ;   in Loop: Header=BB4_269 Depth=4
	s_and_saveexec_b64 s[52:53], s[12:13]
	s_cbranch_execz .LBB4_312
; %bb.300:                              ;   in Loop: Header=BB4_269 Depth=4
	s_mov_b64 s[56:57], exec
	v_mbcnt_lo_u32_b32 v1, s56, 0
	v_mbcnt_hi_u32_b32 v1, s57, v1
	v_cmp_eq_u32_e32 vcc, 0, v1
	s_waitcnt vmcnt(0) lgkmcnt(0)
	buffer_wbinvl1_vol
	s_and_saveexec_b64 s[54:55], vcc
	s_cbranch_execz .LBB4_302
; %bb.301:                              ;   in Loop: Header=BB4_269 Depth=4
	s_bcnt1_i32_b64 vcc_lo, s[56:57]
	v_mov_b32_e32 v12, vcc_lo
	v_mov_b32_e32 v13, v36
	ds_add_u64 v0, v[12:13]
	s_trap 2
.LBB4_302:                              ;   in Loop: Header=BB4_269 Depth=4
	s_or_b64 exec, exec, s[54:55]
	s_trap 2
	ds_read_b64 v[12:13], v0
	v_add_co_u32_e32 v10, vcc, v10, v30
	v_addc_co_u32_e32 v11, vcc, 0, v11, vcc
	s_waitcnt lgkmcnt(0)
	v_cmp_lt_u64_e32 vcc, v[12:13], v[10:11]
	s_and_saveexec_b64 s[54:55], vcc
	s_cbranch_execz .LBB4_311
; %bb.303:                              ;   in Loop: Header=BB4_269 Depth=4
	s_mov_b32 s76, 0
	s_mov_b64 s[56:57], 0
                                        ; implicit-def: $sgpr58_sgpr59
                                        ; implicit-def: $sgpr60_sgpr61
	s_branch .LBB4_305
.LBB4_304:                              ;   in Loop: Header=BB4_305 Depth=5
	s_or_b64 exec, exec, s[64:65]
	s_and_b64 vcc, exec, vcc
	s_or_b64 s[56:57], vcc, s[56:57]
	s_andn2_b64 vcc, s[58:59], exec
	s_and_b64 s[58:59], s[60:61], exec
	s_or_b64 s[58:59], vcc, s[58:59]
	s_andn2_b64 exec, exec, s[56:57]
	s_cbranch_execz .LBB4_309
.LBB4_305:                              ;   Parent Loop BB4_53 Depth=1
                                        ;     Parent Loop BB4_90 Depth=2
                                        ;       Parent Loop BB4_266 Depth=3
                                        ;         Parent Loop BB4_269 Depth=4
                                        ; =>        This Inner Loop Header: Depth=5
	s_add_i32 s76, s76, 1
	s_cmpk_lg_i32 s76, 0x2710
	s_cselect_b64 s[62:63], -1, 0
	s_and_b64 vcc, exec, s[62:63]
                                        ; implicit-def: $sgpr64_sgpr65
	s_cbranch_vccnz .LBB4_307
; %bb.306:                              ;   in Loop: Header=BB4_305 Depth=5
	s_trap 2
	ds_read_b64 v[12:13], v0
	s_andn2_b64 s[62:63], s[62:63], exec
	s_mov_b32 s76, 0
	s_mov_b64 s[64:65], -1
	s_waitcnt lgkmcnt(0)
	flat_load_dword v1, v[12:13] glc
	s_waitcnt vmcnt(0) lgkmcnt(0)
	buffer_invl2
	buffer_wbinvl1_vol
	v_cmp_eq_u32_e32 vcc, 0, v1
	s_and_b64 vcc, vcc, exec
	s_or_b64 s[62:63], s[62:63], vcc
.LBB4_307:                              ;   in Loop: Header=BB4_305 Depth=5
	s_andn2_b64 s[60:61], s[60:61], exec
	s_and_b64 s[64:65], s[64:65], exec
	s_mov_b64 vcc, -1
	s_or_b64 s[60:61], s[60:61], s[64:65]
	s_and_saveexec_b64 s[64:65], s[62:63]
	s_cbranch_execz .LBB4_304
; %bb.308:                              ;   in Loop: Header=BB4_305 Depth=5
	s_sleep 1
	s_trap 2
	ds_read_b64 v[12:13], v0
	s_andn2_b64 s[60:61], s[60:61], exec
	s_waitcnt lgkmcnt(0)
	v_cmp_ge_u64_e32 vcc, v[12:13], v[10:11]
	s_orn2_b64 vcc, vcc, exec
	s_branch .LBB4_304
.LBB4_309:                              ;   in Loop: Header=BB4_269 Depth=4
	s_or_b64 exec, exec, s[56:57]
	s_and_saveexec_b64 vcc, s[58:59]
	s_xor_b64 vcc, exec, vcc
	s_cbranch_execz .LBB4_311
; %bb.310:                              ;   in Loop: Header=BB4_269 Depth=4
	ds_write_b32 v0, v31
	s_trap 2
.LBB4_311:                              ;   in Loop: Header=BB4_269 Depth=4
	s_or_b64 exec, exec, s[54:55]
	;;#ASMSTART
	s_wakeup
	;;#ASMEND
.LBB4_312:                              ;   in Loop: Header=BB4_269 Depth=4
	s_or_b64 exec, exec, s[52:53]
.LBB4_313:                              ;   in Loop: Header=BB4_269 Depth=4
	s_andn2_saveexec_b64 vcc, s[50:51]
	s_cbranch_execz .LBB4_315
; %bb.314:                              ;   in Loop: Header=BB4_269 Depth=4
	s_waitcnt vmcnt(0) lgkmcnt(0)
	buffer_wbinvl1_vol
	s_barrier
.LBB4_315:                              ;   in Loop: Header=BB4_269 Depth=4
	s_or_b64 exec, exec, vcc
.LBB4_316:                              ;   in Loop: Header=BB4_269 Depth=4
	s_or_b64 exec, exec, s[22:23]
	s_trap 2
	ds_read_b32 v9, v0
	v_and_b32_e32 v1, 0x4000, v55
	v_cmp_ne_u32_e32 vcc, 0, v1
	s_xor_b64 s[22:23], s[14:15], -1
	s_and_b64 vcc, s[22:23], vcc
	s_and_saveexec_b64 s[22:23], vcc
	s_cbranch_execz .LBB4_335
; %bb.317:                              ;   in Loop: Header=BB4_269 Depth=4
	s_and_saveexec_b64 vcc, s[28:29]
	s_xor_b64 s[50:51], exec, vcc
	s_cbranch_execz .LBB4_332
; %bb.318:                              ;   in Loop: Header=BB4_269 Depth=4
	s_and_saveexec_b64 s[52:53], s[12:13]
	s_cbranch_execz .LBB4_331
; %bb.319:                              ;   in Loop: Header=BB4_269 Depth=4
	s_mov_b64 s[56:57], exec
	v_mbcnt_lo_u32_b32 v1, s56, 0
	v_mbcnt_hi_u32_b32 v1, s57, v1
	v_cmp_eq_u32_e32 vcc, 0, v1
	s_waitcnt vmcnt(0) lgkmcnt(0)
	buffer_wbinvl1_vol
	s_and_saveexec_b64 s[54:55], vcc
	s_cbranch_execz .LBB4_321
; %bb.320:                              ;   in Loop: Header=BB4_269 Depth=4
	s_bcnt1_i32_b64 vcc_lo, s[56:57]
	v_mov_b32_e32 v12, vcc_lo
	v_mov_b32_e32 v13, v36
	ds_add_u64 v0, v[12:13]
	s_trap 2
.LBB4_321:                              ;   in Loop: Header=BB4_269 Depth=4
	s_or_b64 exec, exec, s[54:55]
	s_trap 2
	ds_read_b64 v[12:13], v0
	v_add_co_u32_e32 v10, vcc, v10, v30
	v_addc_co_u32_e32 v11, vcc, 0, v11, vcc
	s_waitcnt lgkmcnt(0)
	v_cmp_lt_u64_e32 vcc, v[12:13], v[10:11]
	s_and_saveexec_b64 s[54:55], vcc
	s_cbranch_execz .LBB4_330
; %bb.322:                              ;   in Loop: Header=BB4_269 Depth=4
	s_mov_b32 s76, 0
	s_mov_b64 s[56:57], 0
                                        ; implicit-def: $sgpr58_sgpr59
                                        ; implicit-def: $sgpr60_sgpr61
	s_branch .LBB4_324
.LBB4_323:                              ;   in Loop: Header=BB4_324 Depth=5
	s_or_b64 exec, exec, s[64:65]
	s_and_b64 vcc, exec, vcc
	s_or_b64 s[56:57], vcc, s[56:57]
	s_andn2_b64 vcc, s[58:59], exec
	s_and_b64 s[58:59], s[60:61], exec
	s_or_b64 s[58:59], vcc, s[58:59]
	s_andn2_b64 exec, exec, s[56:57]
	s_cbranch_execz .LBB4_328
.LBB4_324:                              ;   Parent Loop BB4_53 Depth=1
                                        ;     Parent Loop BB4_90 Depth=2
                                        ;       Parent Loop BB4_266 Depth=3
                                        ;         Parent Loop BB4_269 Depth=4
                                        ; =>        This Inner Loop Header: Depth=5
	s_add_i32 s76, s76, 1
	s_cmpk_lg_i32 s76, 0x2710
	s_cselect_b64 s[62:63], -1, 0
	s_and_b64 vcc, exec, s[62:63]
                                        ; implicit-def: $sgpr64_sgpr65
	s_cbranch_vccnz .LBB4_326
; %bb.325:                              ;   in Loop: Header=BB4_324 Depth=5
	s_trap 2
	ds_read_b64 v[12:13], v0
	s_andn2_b64 s[62:63], s[62:63], exec
	s_mov_b32 s76, 0
	s_mov_b64 s[64:65], -1
	s_waitcnt lgkmcnt(0)
	flat_load_dword v1, v[12:13] glc
	s_waitcnt vmcnt(0) lgkmcnt(0)
	buffer_invl2
	buffer_wbinvl1_vol
	v_cmp_eq_u32_e32 vcc, 0, v1
	s_and_b64 vcc, vcc, exec
	s_or_b64 s[62:63], s[62:63], vcc
.LBB4_326:                              ;   in Loop: Header=BB4_324 Depth=5
	s_andn2_b64 s[60:61], s[60:61], exec
	s_and_b64 s[64:65], s[64:65], exec
	s_mov_b64 vcc, -1
	s_or_b64 s[60:61], s[60:61], s[64:65]
	s_and_saveexec_b64 s[64:65], s[62:63]
	s_cbranch_execz .LBB4_323
; %bb.327:                              ;   in Loop: Header=BB4_324 Depth=5
	s_sleep 1
	s_trap 2
	ds_read_b64 v[12:13], v0
	s_andn2_b64 s[60:61], s[60:61], exec
	s_waitcnt lgkmcnt(0)
	v_cmp_ge_u64_e32 vcc, v[12:13], v[10:11]
	s_orn2_b64 vcc, vcc, exec
	s_branch .LBB4_323
.LBB4_328:                              ;   in Loop: Header=BB4_269 Depth=4
	s_or_b64 exec, exec, s[56:57]
	s_and_saveexec_b64 vcc, s[58:59]
	s_xor_b64 vcc, exec, vcc
	s_cbranch_execz .LBB4_330
; %bb.329:                              ;   in Loop: Header=BB4_269 Depth=4
	ds_write_b32 v0, v31
	s_trap 2
.LBB4_330:                              ;   in Loop: Header=BB4_269 Depth=4
	s_or_b64 exec, exec, s[54:55]
	;;#ASMSTART
	s_wakeup
	;;#ASMEND
.LBB4_331:                              ;   in Loop: Header=BB4_269 Depth=4
	s_or_b64 exec, exec, s[52:53]
.LBB4_332:                              ;   in Loop: Header=BB4_269 Depth=4
	s_andn2_saveexec_b64 vcc, s[50:51]
	s_cbranch_execz .LBB4_334
; %bb.333:                              ;   in Loop: Header=BB4_269 Depth=4
	s_waitcnt vmcnt(0) lgkmcnt(0)
	buffer_wbinvl1_vol
	s_barrier
.LBB4_334:                              ;   in Loop: Header=BB4_269 Depth=4
	s_or_b64 exec, exec, vcc
.LBB4_335:                              ;   in Loop: Header=BB4_269 Depth=4
	s_or_b64 exec, exec, s[22:23]
	s_trap 2
	ds_read_b64 v[12:13], v0
	v_mov_b32_e32 v37, 0
	s_waitcnt lgkmcnt(0)
	v_readfirstlane_b32 s22, v12
	v_readfirstlane_b32 s23, v13
	s_cmp_eq_u64 s[22:23], 0
	s_cselect_b64 s[22:23], -1, 0
	s_or_b64 s[22:23], s[22:23], s[22:23]
	s_and_b64 vcc, exec, s[22:23]
	s_cbranch_vccnz .LBB4_365
; %bb.336:                              ;   in Loop: Header=BB4_269 Depth=4
	s_mov_b64 s[22:23], -1
	s_and_saveexec_b64 s[50:51], s[16:17]
	s_cbranch_execz .LBB4_338
; %bb.337:                              ;   in Loop: Header=BB4_269 Depth=4
	ds_read_b32 v1, v0 offset:720
	s_waitcnt lgkmcnt(0)
	v_and_b32_e32 v1, 15, v1
	v_cmp_eq_u32_e32 vcc, 0, v1
	s_orn2_b64 s[22:23], vcc, exec
.LBB4_338:                              ;   in Loop: Header=BB4_269 Depth=4
	s_or_b64 exec, exec, s[50:51]
	s_and_saveexec_b64 s[50:51], s[16:17]
	s_cbranch_execz .LBB4_340
; %bb.339:                              ;   in Loop: Header=BB4_269 Depth=4
	ds_read_b32 v1, v0 offset:784
	s_waitcnt lgkmcnt(0)
	v_and_b32_e32 v1, 15, v1
	v_cmp_eq_u32_e32 vcc, 0, v1
	s_and_b64 vcc, s[22:23], vcc
	s_andn2_b64 s[22:23], s[22:23], exec
	s_and_b64 vcc, vcc, exec
	s_or_b64 s[22:23], s[22:23], vcc
.LBB4_340:                              ;   in Loop: Header=BB4_269 Depth=4
	s_or_b64 exec, exec, s[50:51]
	v_cmp_eq_u32_e32 vcc, 0, v9
	s_xor_b64 s[22:23], s[22:23], -1
	v_cndmask_b32_e32 v37, 0, v8, vcc
	v_cndmask_b32_e64 v1, 0, 1, s[22:23]
	v_mov_b32_e32 v15, 0
	s_mov_b64 s[52:53], -1
	;;#ASMSTART
	;;#ASMEND
	v_cmp_ne_u32_e32 vcc, 0, v1
	v_mov_b32_e32 v38, v37
	v_mov_b32_e32 v39, v0
	;; [unrolled: 1-line block ×3, first 2 shown]
	s_cbranch_vccz .LBB4_342
; %bb.341:                              ;   in Loop: Header=BB4_269 Depth=4
	s_and_saveexec_b64 s[22:23], s[52:53]
	s_cbranch_execnz .LBB4_355
	s_branch .LBB4_364
.LBB4_342:                              ;   in Loop: Header=BB4_269 Depth=4
	v_ashrrev_i32_e32 v1, 31, v37
	v_lshrrev_b32_e32 v1, 21, v1
	v_add_u32_e32 v1, v37, v1
	v_ashrrev_i32_e32 v9, 11, v1
	v_sub_u32_e32 v33, v9, v56
	v_cmp_lt_i32_e32 vcc, 0, v33
	s_and_saveexec_b64 s[22:23], vcc
	s_cbranch_execz .LBB4_346
; %bb.343:                              ;   in Loop: Header=BB4_269 Depth=4
	s_trap 2
	ds_read_b64 v[12:13], v0
	v_accvgpr_read_b32 v14, a20
	s_mov_b64 s[50:51], 0
	v_accvgpr_read_b32 v15, a21
.LBB4_344:                              ;   Parent Loop BB4_53 Depth=1
                                        ;     Parent Loop BB4_90 Depth=2
                                        ;       Parent Loop BB4_266 Depth=3
                                        ;         Parent Loop BB4_269 Depth=4
                                        ; =>        This Inner Loop Header: Depth=5
	s_waitcnt lgkmcnt(0)
	v_add_co_u32_e32 v38, vcc, v12, v14
	v_addc_co_u32_e32 v39, vcc, v13, v15, vcc
	global_load_dwordx4 v[48:51], v[38:39], off glc slc
	global_load_dwordx4 v[58:61], v[38:39], off offset:1024 glc slc
	v_add_co_u32_e32 v14, vcc, v14, v3
	v_sub_u32_e32 v33, v33, v30
	v_addc_co_u32_e32 v15, vcc, v15, v28, vcc
	v_cmp_gt_i32_e32 vcc, 1, v33
	s_or_b64 s[50:51], vcc, s[50:51]
	s_waitcnt vmcnt(0)
	global_store_dwordx4 v[38:39], v[48:51], off glc slc
	global_store_dwordx4 v[38:39], v[58:61], off offset:1024 glc slc
	s_andn2_b64 exec, exec, s[50:51]
	s_cbranch_execnz .LBB4_344
; %bb.345:                              ;   in Loop: Header=BB4_269 Depth=4
	s_or_b64 exec, exec, s[50:51]
.LBB4_346:                              ;   in Loop: Header=BB4_269 Depth=4
	s_or_b64 exec, exec, s[22:23]
	v_lshlrev_b32_e32 v32, 11, v9
	v_cmp_ne_u32_e32 vcc, v37, v32
	s_mov_b64 s[52:53], 0
	v_mov_b32_e32 v15, 0
                                        ; implicit-def: $vgpr38
                                        ; implicit-def: $vgpr39
                                        ; implicit-def: $vgpr9
	s_and_saveexec_b64 s[50:51], vcc
	s_cbranch_execz .LBB4_354
; %bb.347:                              ;   in Loop: Header=BB4_269 Depth=4
	v_lshlrev_b32_e32 v2, 6, v33
	v_accvgpr_read_b32 v6, a7
	v_sub_u32_e32 v2, v6, v2
	v_ashrrev_i32_e32 v6, 31, v2
	v_lshrrev_b32_e32 v6, 26, v6
	v_add_u32_e32 v6, v2, v6
	v_ashrrev_i32_e32 v7, 6, v6
	v_and_b32_e32 v6, 0xffffffc0, v6
	v_sub_u32_e32 v33, v2, v6
	v_sub_u32_e32 v1, v37, v32
	v_lshlrev_b32_e32 v2, 4, v33
	v_lshl_add_u32 v9, v7, 10, v2
	v_ashrrev_i32_e32 v2, 31, v1
	v_lshrrev_b32_e32 v2, 22, v2
	v_add_u32_e32 v2, v1, v2
	v_and_b32_e32 v43, 0xfffffc00, v2
	v_sub_u32_e32 v58, v1, v43
	v_ashrrev_i32_e32 v6, 10, v2
	v_cmp_lt_i32_e32 vcc, 15, v58
	v_sub_u32_e32 v15, v1, v9
	v_addc_co_u32_e64 v1, s[22:23], 0, v6, vcc
	v_sub_u32_e32 v46, v1, v7
	v_cmp_lt_i32_e64 s[22:23], 15, v15
	s_and_saveexec_b64 s[52:53], s[22:23]
	s_cbranch_execz .LBB4_351
; %bb.348:                              ;   in Loop: Header=BB4_269 Depth=4
	s_trap 2
	ds_read_b64 v[12:13], v0
	v_add_u32_e32 v14, v9, v32
	v_ashrrev_i32_e32 v9, 31, v14
	s_mov_b64 s[54:55], 0
.LBB4_349:                              ;   Parent Loop BB4_53 Depth=1
                                        ;     Parent Loop BB4_90 Depth=2
                                        ;       Parent Loop BB4_266 Depth=3
                                        ;         Parent Loop BB4_269 Depth=4
                                        ; =>        This Inner Loop Header: Depth=5
	s_waitcnt lgkmcnt(0)
	v_add_co_u32_e64 v38, s[22:23], v12, v14
	v_addc_co_u32_e64 v39, s[22:23], v13, v9, s[22:23]
	global_load_dwordx4 v[48:51], v[38:39], off glc slc
	v_add_co_u32_e64 v14, s[22:23], v14, v29
	v_sub_u32_e32 v15, v15, v52
	v_addc_co_u32_e64 v9, s[22:23], v9, v62, s[22:23]
	v_cmp_gt_i32_e64 s[22:23], 16, v15
	v_sub_u32_e32 v46, v46, v30
	s_or_b64 s[54:55], s[22:23], s[54:55]
	s_waitcnt vmcnt(0)
	global_store_dwordx4 v[38:39], v[48:51], off glc slc
	s_andn2_b64 exec, exec, s[54:55]
	s_cbranch_execnz .LBB4_349
; %bb.350:                              ;   in Loop: Header=BB4_269 Depth=4
	s_or_b64 exec, exec, s[54:55]
.LBB4_351:                              ;   in Loop: Header=BB4_269 Depth=4
	s_or_b64 exec, exec, s[52:53]
	v_and_b32_e32 v12, 15, v37
	v_cndmask_b32_e32 v38, v58, v12, vcc
	v_cmp_ne_u32_e64 s[22:23], 0, v38
	s_mov_b64 s[52:53], 0
	v_mov_b32_e32 v15, 0
                                        ; implicit-def: $vgpr39
                                        ; implicit-def: $vgpr9
	s_and_saveexec_b64 s[54:55], s[22:23]
	s_cbranch_execz .LBB4_353
; %bb.352:                              ;   in Loop: Header=BB4_269 Depth=4
	v_sub_u32_e32 v1, v58, v12
	v_cndmask_b32_e32 v1, 0, v1, vcc
	v_cmp_lt_i32_e32 vcc, 0, v46
	v_add3_u32 v15, v43, v32, v1
	v_cndmask_b32_e32 v1, 0, v30, vcc
	v_sub_u32_e32 v1, v1, v46
	v_lshl_add_u32 v39, v1, 6, v33
	v_ashrrev_i32_e32 v1, 31, v39
	v_lshrrev_b32_e32 v1, 26, v1
	v_add_u32_e32 v1, v39, v1
	s_mov_b64 s[52:53], exec
	v_ashrrev_i32_e32 v9, 6, v1
.LBB4_353:                              ;   in Loop: Header=BB4_269 Depth=4
	s_or_b64 exec, exec, s[54:55]
	s_and_b64 s[52:53], s[52:53], exec
.LBB4_354:                              ;   in Loop: Header=BB4_269 Depth=4
	s_or_b64 exec, exec, s[50:51]
	s_and_saveexec_b64 s[22:23], s[52:53]
	s_cbranch_execz .LBB4_364
.LBB4_355:                              ;   in Loop: Header=BB4_269 Depth=4
	v_ashrrev_i32_e32 v1, 31, v38
	v_lshrrev_b32_e32 v1, 22, v1
	v_add_u32_e32 v1, v38, v1
	v_ashrrev_i32_e32 v58, 10, v1
	v_sub_u32_e32 v43, v58, v9
	v_ashrrev_i32_e32 v1, 31, v39
	v_cmp_lt_i32_e32 vcc, 0, v43
	v_lshrrev_b32_e32 v46, 26, v1
	s_and_saveexec_b64 s[50:51], vcc
	s_cbranch_execz .LBB4_359
; %bb.356:                              ;   in Loop: Header=BB4_269 Depth=4
	s_trap 2
	ds_read_b64 v[12:13], v0
	v_add_u32_e32 v1, v39, v46
	v_and_b32_e32 v1, 0xffffffc0, v1
	v_sub_u32_e32 v1, v39, v1
	v_lshlrev_b32_e32 v2, 10, v9
	v_add3_u32 v14, v15, v1, v2
	v_ashrrev_i32_e32 v9, 31, v14
	s_mov_b64 s[52:53], 0
	s_waitcnt lgkmcnt(0)
	v_pk_mov_b32 v[32:33], v[12:13], v[12:13] op_sel:[0,1]
.LBB4_357:                              ;   Parent Loop BB4_53 Depth=1
                                        ;     Parent Loop BB4_90 Depth=2
                                        ;       Parent Loop BB4_266 Depth=3
                                        ;         Parent Loop BB4_269 Depth=4
                                        ; =>        This Inner Loop Header: Depth=5
	v_add_co_u32_e32 v48, vcc, v14, v32
	v_addc_co_u32_e32 v49, vcc, v9, v33, vcc
	flat_load_ubyte v1, v[48:49] glc slc
	flat_load_ubyte v2, v[48:49] offset:64 glc slc
	flat_load_ubyte v6, v[48:49] offset:128 glc slc
	flat_load_ubyte v7, v[48:49] offset:192 glc slc
	flat_load_ubyte v34, v[48:49] offset:256 glc slc
	flat_load_ubyte v35, v[48:49] offset:320 glc slc
	flat_load_ubyte v50, v[48:49] offset:384 glc slc
	flat_load_ubyte v51, v[48:49] offset:448 glc slc
	flat_load_ubyte v53, v[48:49] offset:512 glc slc
	flat_load_ubyte v41, v[48:49] offset:576 glc slc
	flat_load_ubyte v44, v[48:49] offset:640 glc slc
	flat_load_ubyte v45, v[48:49] offset:704 glc slc
	flat_load_ubyte v47, v[48:49] offset:768 glc slc
	flat_load_ubyte v59, v[48:49] offset:832 glc slc
	flat_load_ubyte v60, v[48:49] offset:896 glc slc
	flat_load_ubyte v61, v[48:49] offset:960 glc slc
	v_add_co_u32_e32 v48, vcc, v14, v12
	v_addc_co_u32_e32 v49, vcc, v9, v13, vcc
	v_add_co_u32_e32 v32, vcc, v32, v29
	v_addc_co_u32_e32 v33, vcc, v33, v62, vcc
	v_add_co_u32_e32 v12, vcc, v12, v29
	v_sub_u32_e32 v43, v43, v30
	v_addc_co_u32_e32 v13, vcc, v13, v62, vcc
	v_cmp_gt_i32_e32 vcc, 1, v43
	s_or_b64 s[52:53], vcc, s[52:53]
	s_waitcnt vmcnt(0) lgkmcnt(0)
	flat_store_byte v[48:49], v1 glc slc
	flat_store_byte v[48:49], v2 offset:64 glc slc
	flat_store_byte v[48:49], v6 offset:128 glc slc
	;; [unrolled: 1-line block ×15, first 2 shown]
	s_andn2_b64 exec, exec, s[52:53]
	s_cbranch_execnz .LBB4_357
; %bb.358:                              ;   in Loop: Header=BB4_269 Depth=4
	s_or_b64 exec, exec, s[52:53]
	v_accvgpr_read_b32 v53, a23
.LBB4_359:                              ;   in Loop: Header=BB4_269 Depth=4
	s_or_b64 exec, exec, s[50:51]
	v_lshlrev_b32_e32 v9, 10, v58
	v_cmp_ne_u32_e32 vcc, v38, v9
	s_and_saveexec_b64 s[50:51], vcc
	s_cbranch_execz .LBB4_363
; %bb.360:                              ;   in Loop: Header=BB4_269 Depth=4
	v_add_u32_e32 v1, v39, v46
	v_and_b32_e32 v1, 0xffffffc0, v1
	v_sub_u32_e32 v1, v39, v1
	v_lshlrev_b32_e32 v2, 6, v43
	v_sub_u32_e32 v1, v1, v2
	v_add_u32_e32 v9, v9, v1
	v_sub_u32_e32 v32, v38, v9
	v_cmp_lt_i32_e32 vcc, 0, v32
	s_and_b64 exec, exec, vcc
	s_cbranch_execz .LBB4_363
; %bb.361:                              ;   in Loop: Header=BB4_269 Depth=4
	s_trap 2
	ds_read_b64 v[12:13], v0
	v_add_u32_e32 v14, v9, v15
	v_ashrrev_i32_e32 v9, 31, v14
	s_mov_b64 s[52:53], 0
.LBB4_362:                              ;   Parent Loop BB4_53 Depth=1
                                        ;     Parent Loop BB4_90 Depth=2
                                        ;       Parent Loop BB4_266 Depth=3
                                        ;         Parent Loop BB4_269 Depth=4
                                        ; =>        This Inner Loop Header: Depth=5
	s_waitcnt lgkmcnt(0)
	v_add_co_u32_e32 v38, vcc, v12, v14
	v_addc_co_u32_e32 v39, vcc, v13, v9, vcc
	flat_load_ubyte v1, v[38:39] glc slc
	v_add_co_u32_e32 v14, vcc, v14, v54
	v_sub_u32_e32 v32, v32, v54
	v_addc_co_u32_e32 v9, vcc, v9, v21, vcc
	v_cmp_gt_i32_e32 vcc, 1, v32
	s_or_b64 s[52:53], vcc, s[52:53]
	s_waitcnt vmcnt(0) lgkmcnt(0)
	flat_store_byte v[38:39], v1 glc slc
	s_andn2_b64 exec, exec, s[52:53]
	s_cbranch_execnz .LBB4_362
.LBB4_363:                              ;   in Loop: Header=BB4_269 Depth=4
	s_or_b64 exec, exec, s[50:51]
.LBB4_364:                              ;   in Loop: Header=BB4_269 Depth=4
	s_or_b64 exec, exec, s[22:23]
.LBB4_365:                              ;   in Loop: Header=BB4_269 Depth=4
	s_and_saveexec_b64 s[22:23], s[6:7]
	s_cbranch_execz .LBB4_384
; %bb.366:                              ;   in Loop: Header=BB4_269 Depth=4
	s_and_saveexec_b64 vcc, s[28:29]
	s_xor_b64 s[50:51], exec, vcc
	s_cbranch_execz .LBB4_381
; %bb.367:                              ;   in Loop: Header=BB4_269 Depth=4
	s_and_saveexec_b64 s[52:53], s[12:13]
	s_cbranch_execz .LBB4_380
; %bb.368:                              ;   in Loop: Header=BB4_269 Depth=4
	s_mov_b64 s[56:57], exec
	v_mbcnt_lo_u32_b32 v1, s56, 0
	v_mbcnt_hi_u32_b32 v1, s57, v1
	v_cmp_eq_u32_e32 vcc, 0, v1
	s_waitcnt vmcnt(0) lgkmcnt(0)
	buffer_wbinvl1_vol
	s_and_saveexec_b64 s[54:55], vcc
	s_cbranch_execz .LBB4_370
; %bb.369:                              ;   in Loop: Header=BB4_269 Depth=4
	s_bcnt1_i32_b64 vcc_lo, s[56:57]
	v_mov_b32_e32 v12, vcc_lo
	v_mov_b32_e32 v13, v36
	ds_add_u64 v0, v[12:13]
	s_trap 2
.LBB4_370:                              ;   in Loop: Header=BB4_269 Depth=4
	s_or_b64 exec, exec, s[54:55]
	s_trap 2
	ds_read_b64 v[12:13], v0
	v_add_co_u32_e32 v10, vcc, v10, v30
	v_addc_co_u32_e32 v11, vcc, 0, v11, vcc
	s_waitcnt lgkmcnt(0)
	v_cmp_lt_u64_e32 vcc, v[12:13], v[10:11]
	s_and_saveexec_b64 s[54:55], vcc
	s_cbranch_execz .LBB4_379
; %bb.371:                              ;   in Loop: Header=BB4_269 Depth=4
	s_mov_b32 s76, 0
	s_mov_b64 s[56:57], 0
                                        ; implicit-def: $sgpr58_sgpr59
                                        ; implicit-def: $sgpr60_sgpr61
	s_branch .LBB4_373
.LBB4_372:                              ;   in Loop: Header=BB4_373 Depth=5
	s_or_b64 exec, exec, s[64:65]
	s_and_b64 vcc, exec, vcc
	s_or_b64 s[56:57], vcc, s[56:57]
	s_andn2_b64 vcc, s[58:59], exec
	s_and_b64 s[58:59], s[60:61], exec
	s_or_b64 s[58:59], vcc, s[58:59]
	s_andn2_b64 exec, exec, s[56:57]
	s_cbranch_execz .LBB4_377
.LBB4_373:                              ;   Parent Loop BB4_53 Depth=1
                                        ;     Parent Loop BB4_90 Depth=2
                                        ;       Parent Loop BB4_266 Depth=3
                                        ;         Parent Loop BB4_269 Depth=4
                                        ; =>        This Inner Loop Header: Depth=5
	s_add_i32 s76, s76, 1
	s_cmpk_lg_i32 s76, 0x2710
	s_cselect_b64 s[62:63], -1, 0
	s_and_b64 vcc, exec, s[62:63]
                                        ; implicit-def: $sgpr64_sgpr65
	s_cbranch_vccnz .LBB4_375
; %bb.374:                              ;   in Loop: Header=BB4_373 Depth=5
	s_trap 2
	ds_read_b64 v[12:13], v0
	s_andn2_b64 s[62:63], s[62:63], exec
	s_mov_b32 s76, 0
	s_mov_b64 s[64:65], -1
	s_waitcnt lgkmcnt(0)
	flat_load_dword v1, v[12:13] glc
	s_waitcnt vmcnt(0) lgkmcnt(0)
	buffer_invl2
	buffer_wbinvl1_vol
	v_cmp_eq_u32_e32 vcc, 0, v1
	s_and_b64 vcc, vcc, exec
	s_or_b64 s[62:63], s[62:63], vcc
.LBB4_375:                              ;   in Loop: Header=BB4_373 Depth=5
	s_andn2_b64 s[60:61], s[60:61], exec
	s_and_b64 s[64:65], s[64:65], exec
	s_mov_b64 vcc, -1
	s_or_b64 s[60:61], s[60:61], s[64:65]
	s_and_saveexec_b64 s[64:65], s[62:63]
	s_cbranch_execz .LBB4_372
; %bb.376:                              ;   in Loop: Header=BB4_373 Depth=5
	s_sleep 1
	s_trap 2
	ds_read_b64 v[12:13], v0
	s_andn2_b64 s[60:61], s[60:61], exec
	s_waitcnt lgkmcnt(0)
	v_cmp_ge_u64_e32 vcc, v[12:13], v[10:11]
	s_orn2_b64 vcc, vcc, exec
	s_branch .LBB4_372
.LBB4_377:                              ;   in Loop: Header=BB4_269 Depth=4
	s_or_b64 exec, exec, s[56:57]
	s_and_saveexec_b64 vcc, s[58:59]
	s_xor_b64 vcc, exec, vcc
	s_cbranch_execz .LBB4_379
; %bb.378:                              ;   in Loop: Header=BB4_269 Depth=4
	ds_write_b32 v0, v31
	s_trap 2
.LBB4_379:                              ;   in Loop: Header=BB4_269 Depth=4
	s_or_b64 exec, exec, s[54:55]
	;;#ASMSTART
	s_wakeup
	;;#ASMEND
.LBB4_380:                              ;   in Loop: Header=BB4_269 Depth=4
	s_or_b64 exec, exec, s[52:53]
.LBB4_381:                              ;   in Loop: Header=BB4_269 Depth=4
	s_andn2_saveexec_b64 vcc, s[50:51]
	s_cbranch_execz .LBB4_383
; %bb.382:                              ;   in Loop: Header=BB4_269 Depth=4
	s_waitcnt vmcnt(0) lgkmcnt(0)
	buffer_wbinvl1_vol
	s_barrier
.LBB4_383:                              ;   in Loop: Header=BB4_269 Depth=4
	s_or_b64 exec, exec, vcc
.LBB4_384:                              ;   in Loop: Header=BB4_269 Depth=4
	s_or_b64 exec, exec, s[22:23]
	v_and_b32_e32 v9, 16, v55
	v_cmp_lt_i32_e32 vcc, 0, v37
	v_cmp_ne_u32_e64 s[22:23], 0, v9
	s_and_b64 vcc, s[22:23], vcc
	s_and_saveexec_b64 s[22:23], vcc
	s_cbranch_execz .LBB4_386
; %bb.385:                              ;   in Loop: Header=BB4_269 Depth=4
	s_waitcnt vmcnt(0) lgkmcnt(0)
	buffer_wbinvl1_vol
.LBB4_386:                              ;   in Loop: Header=BB4_269 Depth=4
	s_or_b64 exec, exec, s[22:23]
	v_cmp_ne_u32_e32 vcc, 0, v9
	s_xor_b64 s[22:23], s[18:19], -1
	s_and_b64 vcc, vcc, s[22:23]
	s_and_saveexec_b64 s[22:23], vcc
	s_cbranch_execz .LBB4_388
; %bb.387:                              ;   in Loop: Header=BB4_269 Depth=4
	flat_store_dword v[24:25], v31
.LBB4_388:                              ;   in Loop: Header=BB4_269 Depth=4
	s_or_b64 exec, exec, s[22:23]
	v_and_b32_e32 v1, 48, v55
	v_cmp_ne_u32_e32 vcc, 0, v1
	s_and_saveexec_b64 s[22:23], vcc
	s_cbranch_execz .LBB4_268
; %bb.389:                              ;   in Loop: Header=BB4_269 Depth=4
	v_add_co_u32_e32 v16, vcc, 2, v16
	v_addc_co_u32_e32 v17, vcc, 0, v17, vcc
	flat_store_dwordx2 v[18:19], v[16:17]
	s_branch .LBB4_268
.LBB4_390:                              ;   in Loop: Header=BB4_266 Depth=3
	s_or_b64 exec, exec, s[46:47]
.LBB4_391:                              ;   in Loop: Header=BB4_266 Depth=3
	s_or_b64 exec, exec, s[44:45]
	v_cmp_gt_i32_e32 vcc, 2, v9
	s_and_saveexec_b64 s[44:45], vcc
	s_cbranch_execz .LBB4_265
; %bb.392:                              ;   in Loop: Header=BB4_266 Depth=3
	v_cmp_eq_u32_e64 s[22:23], 0, v9
	s_mov_b64 s[46:47], 0
	s_branch .LBB4_394
.LBB4_393:                              ;   in Loop: Header=BB4_394 Depth=4
	s_or_b64 exec, exec, s[22:23]
	v_add_u32_e32 v42, v8, v42
	s_mov_b64 s[22:23], 0
	s_andn2_b64 exec, exec, s[46:47]
	s_cbranch_execz .LBB4_264
.LBB4_394:                              ;   Parent Loop BB4_53 Depth=1
                                        ;     Parent Loop BB4_90 Depth=2
                                        ;       Parent Loop BB4_266 Depth=3
                                        ; =>      This Loop Header: Depth=4
                                        ;           Child Loop BB4_400 Depth 5
                                        ;           Child Loop BB4_428 Depth 5
	v_and_b32_e32 v1, 12, v55
	s_mov_b64 s[50:51], -1
	v_cmp_ne_u32_e32 vcc, 0, v1
	s_and_saveexec_b64 s[48:49], vcc
	s_cbranch_execz .LBB4_406
; %bb.395:                              ;   in Loop: Header=BB4_394 Depth=4
	v_and_b32_e32 v12, 8, v55
	v_add_co_u32_e32 v32, vcc, v26, v12
	v_addc_co_u32_e32 v33, vcc, 0, v27, vcc
	v_add_co_u32_e32 v14, vcc, 2, v16
	v_addc_co_u32_e32 v15, vcc, 0, v17, vcc
	v_cmp_lt_u64_e32 vcc, v[32:33], v[14:15]
	v_mov_b32_e32 v9, 1
	s_and_saveexec_b64 s[50:51], vcc
	s_cbranch_execz .LBB4_405
; %bb.396:                              ;   in Loop: Header=BB4_394 Depth=4
	s_mov_b64 s[52:53], 0
	v_mov_b32_e32 v9, 0
                                        ; implicit-def: $sgpr54_sgpr55
	s_branch .LBB4_400
.LBB4_397:                              ;   in Loop: Header=BB4_400 Depth=5
	s_or_b64 exec, exec, s[62:63]
	v_mov_b32_e32 v13, 0
	s_orn2_b64 s[60:61], s[60:61], exec
.LBB4_398:                              ;   in Loop: Header=BB4_400 Depth=5
	s_or_b64 exec, exec, s[58:59]
	s_andn2_b64 vcc, s[54:55], exec
	s_and_b64 s[54:55], s[60:61], exec
	s_or_b64 s[54:55], vcc, s[54:55]
	v_mov_b32_e32 v9, v13
.LBB4_399:                              ;   in Loop: Header=BB4_400 Depth=5
	s_or_b64 exec, exec, s[56:57]
	s_waitcnt vmcnt(0) lgkmcnt(0)
	v_add_co_u32_e32 v32, vcc, v26, v12
	v_addc_co_u32_e32 v33, vcc, 0, v27, vcc
	v_cmp_ge_u64_e32 vcc, v[32:33], v[14:15]
	s_xor_b64 s[56:57], s[54:55], -1
	s_or_b64 vcc, s[56:57], vcc
	s_and_b64 vcc, exec, vcc
	s_or_b64 s[52:53], vcc, s[52:53]
	s_andn2_b64 exec, exec, s[52:53]
	s_cbranch_execz .LBB4_404
.LBB4_400:                              ;   Parent Loop BB4_53 Depth=1
                                        ;     Parent Loop BB4_90 Depth=2
                                        ;       Parent Loop BB4_266 Depth=3
                                        ;         Parent Loop BB4_394 Depth=4
                                        ; =>        This Inner Loop Header: Depth=5
	s_sleep 1
	flat_load_dwordx2 v[26:27], v[18:19] glc
	v_and_b32_e32 v1, 64, v55
	v_cmp_eq_u32_e32 vcc, 0, v1
	s_andn2_b64 s[54:55], s[54:55], exec
	s_and_saveexec_b64 s[56:57], vcc
	s_cbranch_execz .LBB4_399
; %bb.401:                              ;   in Loop: Header=BB4_400 Depth=5
	v_add_u32_e32 v13, 1, v9
	v_cmp_lt_i32_e32 vcc, s71, v9
	s_mov_b64 s[60:61], -1
	s_and_saveexec_b64 s[58:59], vcc
	s_cbranch_execz .LBB4_398
; %bb.402:                              ;   in Loop: Header=BB4_400 Depth=5
	s_trap 2
	ds_read_b64 v[32:33], v0
	s_waitcnt vmcnt(0) lgkmcnt(0)
	flat_load_dword v9, v[32:33] glc
	s_waitcnt vmcnt(0) lgkmcnt(0)
	buffer_invl2
	buffer_wbinvl1_vol
	v_cmp_ne_u32_e32 vcc, 0, v9
	s_and_saveexec_b64 s[62:63], vcc
	s_cbranch_execz .LBB4_397
; %bb.403:                              ;   in Loop: Header=BB4_400 Depth=5
	v_or_b32_e32 v55, 64, v55
	s_xor_b64 s[60:61], exec, -1
	ds_write_b32 v0, v9
	s_trap 2
	s_branch .LBB4_397
.LBB4_404:                              ;   in Loop: Header=BB4_394 Depth=4
	s_or_b64 exec, exec, s[52:53]
	v_and_b32_e32 v9, 12, v55
.LBB4_405:                              ;   in Loop: Header=BB4_394 Depth=4
	s_or_b64 exec, exec, s[50:51]
	v_cmp_eq_u32_e32 vcc, 0, v9
	s_orn2_b64 s[50:51], vcc, exec
	;;#ASMSTART
	s_wakeup
	;;#ASMEND
.LBB4_406:                              ;   in Loop: Header=BB4_394 Depth=4
	s_or_b64 exec, exec, s[48:49]
	s_xor_b64 s[22:23], s[22:23], -1
	s_and_b64 s[22:23], exec, s[22:23]
	s_or_b64 s[46:47], s[22:23], s[46:47]
	v_sub_u32_e32 v1, v40, v42
	s_xor_b64 s[22:23], s[50:51], -1
	v_min_i32_e32 v8, v8, v1
	s_and_saveexec_b64 s[48:49], s[22:23]
	s_cbranch_execz .LBB4_420
; %bb.407:                              ;   in Loop: Header=BB4_394 Depth=4
	v_and_b32_e32 v1, 0x108, v55
	v_cmp_ne_u32_e32 vcc, s72, v1
	v_and_b32_e32 v12, 7, v16
	s_and_saveexec_b64 s[22:23], vcc
	s_xor_b64 s[22:23], exec, s[22:23]
                                        ; implicit-def: $vgpr14_vgpr15
; %bb.408:                              ;   in Loop: Header=BB4_394 Depth=4
	v_mov_b32_e32 v15, v36
; %bb.409:                              ;   in Loop: Header=BB4_394 Depth=4
	s_andn2_saveexec_b64 s[22:23], s[22:23]
	s_cbranch_execz .LBB4_411
; %bb.410:                              ;   in Loop: Header=BB4_394 Depth=4
	v_mov_b32_e32 v15, v36
	v_mad_u64_u32 v[32:33], vcc, v12, 24, v[4:5]
	v_ashrrev_i32_e32 v9, 31, v8
	flat_store_dwordx2 v[32:33], v[8:9] offset:8
.LBB4_411:                              ;   in Loop: Header=BB4_394 Depth=4
	s_or_b64 exec, exec, s[22:23]
	v_and_b32_e32 v1, 0x100, v55
	v_cmp_ne_u32_e32 vcc, 0, v1
	s_mov_b64 s[22:23], -1
                                        ; implicit-def: $vgpr32_vgpr33
	s_and_saveexec_b64 s[50:51], vcc
	s_cbranch_execz .LBB4_415
; %bb.412:                              ;   in Loop: Header=BB4_394 Depth=4
	v_mad_u64_u32 v[38:39], s[22:23], v12, 24, v[4:5]
	v_mov_b32_e32 v14, v39
	v_mad_u64_u32 v[32:33], s[22:23], v15, 24, v[14:15]
	v_mov_b32_e32 v39, v32
	flat_load_dword v1, v[38:39]
                                        ; implicit-def: $vgpr32_vgpr33
	s_waitcnt vmcnt(0) lgkmcnt(0)
	v_cmp_ne_u32_e32 vcc, 1, v1
	v_cmp_eq_u32_e64 s[22:23], 1, v1
	s_and_saveexec_b64 s[52:53], s[22:23]
	s_cbranch_execz .LBB4_414
; %bb.413:                              ;   in Loop: Header=BB4_394 Depth=4
	flat_load_dword v32, v[38:39] offset:4 glc
	s_waitcnt vmcnt(0) lgkmcnt(0)
	v_ashrrev_i32_e32 v33, 31, v32
.LBB4_414:                              ;   in Loop: Header=BB4_394 Depth=4
	s_or_b64 exec, exec, s[52:53]
	s_orn2_b64 s[22:23], vcc, exec
.LBB4_415:                              ;   in Loop: Header=BB4_394 Depth=4
	s_or_b64 exec, exec, s[50:51]
	s_and_saveexec_b64 vcc, s[22:23]
; %bb.416:                              ;   in Loop: Header=BB4_394 Depth=4
	v_mul_lo_u32 v1, v15, v20
	v_mul_lo_u32 v2, v12, v53
	v_mad_u64_u32 v[32:33], s[22:23], v12, v20, 0
	v_add3_u32 v33, v33, v2, v1
; %bb.417:                              ;   in Loop: Header=BB4_394 Depth=4
	s_or_b64 exec, exec, vcc
	v_add_co_u32_e32 v12, vcc, v22, v32
	v_addc_co_u32_e32 v13, vcc, v23, v33, vcc
	v_and_b32_e32 v1, 0x2000, v55
	v_cmp_ne_u32_e32 vcc, 0, v1
	s_trap 2
	ds_write_b64 v0, v[12:13]
	s_and_saveexec_b64 s[22:23], vcc
	s_cbranch_execz .LBB4_419
; %bb.418:                              ;   in Loop: Header=BB4_394 Depth=4
	ds_read_b64 v[12:13], v0 offset:584
	s_waitcnt lgkmcnt(0)
	v_add_co_u32_e32 v12, vcc, 1, v12
	v_addc_co_u32_e32 v13, vcc, 0, v13, vcc
	ds_write_b64 v0, v[12:13] offset:584
.LBB4_419:                              ;   in Loop: Header=BB4_394 Depth=4
	s_or_b64 exec, exec, s[22:23]
	v_add_co_u32_e32 v16, vcc, 2, v16
	v_addc_co_u32_e32 v17, vcc, 0, v17, vcc
.LBB4_420:                              ;   in Loop: Header=BB4_394 Depth=4
	s_or_b64 exec, exec, s[48:49]
	s_and_saveexec_b64 s[22:23], s[6:7]
	s_cbranch_execz .LBB4_439
; %bb.421:                              ;   in Loop: Header=BB4_394 Depth=4
	s_and_saveexec_b64 vcc, s[28:29]
	s_xor_b64 s[48:49], exec, vcc
	s_cbranch_execz .LBB4_436
; %bb.422:                              ;   in Loop: Header=BB4_394 Depth=4
	s_and_saveexec_b64 s[50:51], s[12:13]
	s_cbranch_execz .LBB4_435
; %bb.423:                              ;   in Loop: Header=BB4_394 Depth=4
	s_mov_b64 s[54:55], exec
	v_mbcnt_lo_u32_b32 v1, s54, 0
	v_mbcnt_hi_u32_b32 v1, s55, v1
	v_cmp_eq_u32_e32 vcc, 0, v1
	s_waitcnt vmcnt(0) lgkmcnt(0)
	buffer_wbinvl1_vol
	s_and_saveexec_b64 s[52:53], vcc
	s_cbranch_execz .LBB4_425
; %bb.424:                              ;   in Loop: Header=BB4_394 Depth=4
	s_bcnt1_i32_b64 vcc_lo, s[54:55]
	v_mov_b32_e32 v12, vcc_lo
	v_mov_b32_e32 v13, v36
	ds_add_u64 v0, v[12:13]
	s_trap 2
.LBB4_425:                              ;   in Loop: Header=BB4_394 Depth=4
	s_or_b64 exec, exec, s[52:53]
	s_trap 2
	ds_read_b64 v[12:13], v0
	v_add_co_u32_e32 v10, vcc, v10, v30
	v_addc_co_u32_e32 v11, vcc, 0, v11, vcc
	s_waitcnt lgkmcnt(0)
	v_cmp_lt_u64_e32 vcc, v[12:13], v[10:11]
	s_and_saveexec_b64 s[52:53], vcc
	s_cbranch_execz .LBB4_434
; %bb.426:                              ;   in Loop: Header=BB4_394 Depth=4
	s_mov_b32 s64, 0
	s_mov_b64 s[54:55], 0
                                        ; implicit-def: $sgpr56_sgpr57
                                        ; implicit-def: $sgpr58_sgpr59
	s_branch .LBB4_428
.LBB4_427:                              ;   in Loop: Header=BB4_428 Depth=5
	s_or_b64 exec, exec, s[62:63]
	s_and_b64 vcc, exec, vcc
	s_or_b64 s[54:55], vcc, s[54:55]
	s_andn2_b64 vcc, s[56:57], exec
	s_and_b64 s[56:57], s[58:59], exec
	s_or_b64 s[56:57], vcc, s[56:57]
	s_andn2_b64 exec, exec, s[54:55]
	s_cbranch_execz .LBB4_432
.LBB4_428:                              ;   Parent Loop BB4_53 Depth=1
                                        ;     Parent Loop BB4_90 Depth=2
                                        ;       Parent Loop BB4_266 Depth=3
                                        ;         Parent Loop BB4_394 Depth=4
                                        ; =>        This Inner Loop Header: Depth=5
	s_add_i32 s64, s64, 1
	s_cmpk_lg_i32 s64, 0x2710
	s_cselect_b64 s[60:61], -1, 0
	s_and_b64 vcc, exec, s[60:61]
                                        ; implicit-def: $sgpr62_sgpr63
	s_cbranch_vccnz .LBB4_430
; %bb.429:                              ;   in Loop: Header=BB4_428 Depth=5
	s_trap 2
	ds_read_b64 v[12:13], v0
	s_andn2_b64 s[60:61], s[60:61], exec
	s_mov_b32 s64, 0
	s_mov_b64 s[62:63], -1
	s_waitcnt lgkmcnt(0)
	flat_load_dword v1, v[12:13] glc
	s_waitcnt vmcnt(0) lgkmcnt(0)
	buffer_invl2
	buffer_wbinvl1_vol
	v_cmp_eq_u32_e32 vcc, 0, v1
	s_and_b64 vcc, vcc, exec
	s_or_b64 s[60:61], s[60:61], vcc
.LBB4_430:                              ;   in Loop: Header=BB4_428 Depth=5
	s_andn2_b64 s[58:59], s[58:59], exec
	s_and_b64 s[62:63], s[62:63], exec
	s_mov_b64 vcc, -1
	s_or_b64 s[58:59], s[58:59], s[62:63]
	s_and_saveexec_b64 s[62:63], s[60:61]
	s_cbranch_execz .LBB4_427
; %bb.431:                              ;   in Loop: Header=BB4_428 Depth=5
	s_sleep 1
	s_trap 2
	ds_read_b64 v[12:13], v0
	s_andn2_b64 s[58:59], s[58:59], exec
	s_waitcnt lgkmcnt(0)
	v_cmp_ge_u64_e32 vcc, v[12:13], v[10:11]
	s_orn2_b64 vcc, vcc, exec
	s_branch .LBB4_427
.LBB4_432:                              ;   in Loop: Header=BB4_394 Depth=4
	s_or_b64 exec, exec, s[54:55]
	s_and_saveexec_b64 vcc, s[56:57]
	s_xor_b64 vcc, exec, vcc
	s_cbranch_execz .LBB4_434
; %bb.433:                              ;   in Loop: Header=BB4_394 Depth=4
	ds_write_b32 v0, v31
	s_trap 2
.LBB4_434:                              ;   in Loop: Header=BB4_394 Depth=4
	s_or_b64 exec, exec, s[52:53]
	;;#ASMSTART
	s_wakeup
	;;#ASMEND
.LBB4_435:                              ;   in Loop: Header=BB4_394 Depth=4
	s_or_b64 exec, exec, s[50:51]
.LBB4_436:                              ;   in Loop: Header=BB4_394 Depth=4
	s_andn2_saveexec_b64 vcc, s[48:49]
	s_cbranch_execz .LBB4_438
; %bb.437:                              ;   in Loop: Header=BB4_394 Depth=4
	s_waitcnt vmcnt(0) lgkmcnt(0)
	buffer_wbinvl1_vol
	s_barrier
.LBB4_438:                              ;   in Loop: Header=BB4_394 Depth=4
	s_or_b64 exec, exec, vcc
.LBB4_439:                              ;   in Loop: Header=BB4_394 Depth=4
	s_or_b64 exec, exec, s[22:23]
	s_trap 2
	ds_read_b32 v1, v0
	v_cmp_lt_i32_e32 vcc, 0, v8
	v_and_b32_e32 v9, 16, v55
	s_waitcnt lgkmcnt(0)
	v_readfirstlane_b32 s22, v1
	s_cmp_eq_u32 s22, 0
	s_cselect_b64 s[22:23], -1, 0
	s_and_b64 s[22:23], vcc, s[22:23]
	v_cmp_ne_u32_e32 vcc, 0, v9
	s_and_b64 vcc, vcc, s[22:23]
	s_and_saveexec_b64 s[22:23], vcc
	s_cbranch_execz .LBB4_441
; %bb.440:                              ;   in Loop: Header=BB4_394 Depth=4
	s_waitcnt vmcnt(0)
	buffer_wbinvl1_vol
.LBB4_441:                              ;   in Loop: Header=BB4_394 Depth=4
	s_or_b64 exec, exec, s[22:23]
	v_cmp_ne_u32_e32 vcc, 0, v9
	s_xor_b64 s[22:23], s[18:19], -1
	s_and_b64 vcc, vcc, s[22:23]
	s_and_saveexec_b64 s[22:23], vcc
	s_cbranch_execz .LBB4_443
; %bb.442:                              ;   in Loop: Header=BB4_394 Depth=4
	flat_store_dword v[24:25], v31
.LBB4_443:                              ;   in Loop: Header=BB4_394 Depth=4
	s_or_b64 exec, exec, s[22:23]
	v_and_b32_e32 v1, 48, v55
	v_cmp_ne_u32_e32 vcc, 0, v1
	s_and_saveexec_b64 s[22:23], vcc
	s_cbranch_execz .LBB4_393
; %bb.444:                              ;   in Loop: Header=BB4_394 Depth=4
	v_add_co_u32_e32 v16, vcc, 2, v16
	v_addc_co_u32_e32 v17, vcc, 0, v17, vcc
	flat_store_dwordx2 v[18:19], v[16:17]
	s_branch .LBB4_393
.LBB4_445:                              ;   in Loop: Header=BB4_90 Depth=2
	v_accvgpr_read_b32 v6, a34
	v_accvgpr_read_b32 v1, a31
	v_add_co_u32_e32 v38, vcc, v6, v1
	v_accvgpr_read_b32 v7, a35
	v_accvgpr_read_b32 v1, a32
	v_max_i32_e32 v32, 0, v38
	v_addc_co_u32_e32 v34, vcc, v7, v1, vcc
	v_add_u32_e32 v1, 31, v32
	v_lshrrev_b32_e32 v1, 1, v1
	v_and_b32_e32 v1, 0x3ffffff0, v1
	v_cmp_lt_i32_e32 vcc, 0, v38
	v_max_i32_e32 v33, s68, v1
	s_and_b64 s[22:23], s[30:31], vcc
	v_mov_b32_e32 v8, 0
	v_mov_b32_e32 v37, 0
	s_and_saveexec_b64 s[42:43], s[22:23]
	s_cbranch_execz .LBB4_564
; %bb.446:                              ;   in Loop: Header=BB4_90 Depth=2
	s_mov_b32 s64, 1
	s_mov_b64 s[46:47], -1
	s_mov_b64 s[44:45], 0
	v_mov_b32_e32 v37, 0
	s_branch .LBB4_448
.LBB4_447:                              ;   in Loop: Header=BB4_448 Depth=3
	s_or_b64 exec, exec, s[22:23]
	v_add_u32_e32 v37, v33, v37
	v_cmp_ge_i32_e32 vcc, v37, v32
	s_xor_b64 s[22:23], s[46:47], -1
	s_or_b64 s[22:23], s[22:23], vcc
	s_and_b64 s[22:23], exec, s[22:23]
	s_or_b64 s[44:45], s[22:23], s[44:45]
	s_mov_b64 s[46:47], 0
	v_mov_b32_e32 v8, s64
	s_mov_b32 s64, 2
	s_andn2_b64 exec, exec, s[44:45]
	s_cbranch_execz .LBB4_563
.LBB4_448:                              ;   Parent Loop BB4_53 Depth=1
                                        ;     Parent Loop BB4_90 Depth=2
                                        ; =>    This Loop Header: Depth=3
                                        ;         Child Loop BB4_458 Depth 4
                                        ;         Child Loop BB4_480 Depth 4
	;; [unrolled: 1-line block ×8, first 2 shown]
	s_and_saveexec_b64 s[22:23], s[4:5]
	s_cbranch_execz .LBB4_450
; %bb.449:                              ;   in Loop: Header=BB4_448 Depth=3
	s_trap 2
	ds_read_b128 v[12:15], v0
	v_ashrrev_i32_e32 v6, 31, v37
	s_waitcnt lgkmcnt(0)
	v_add_co_u32_e32 v1, vcc, v12, v38
	v_addc_co_u32_e32 v2, vcc, v13, v34, vcc
	v_add_co_u32_e32 v8, vcc, v1, v37
	v_addc_co_u32_e32 v9, vcc, v2, v6, vcc
	v_add_co_u32_e32 v1, vcc, v14, v38
	v_addc_co_u32_e32 v2, vcc, v15, v34, vcc
	v_add_co_u32_e32 v1, vcc, v1, v37
	v_addc_co_u32_e32 v2, vcc, v2, v6, vcc
	v_cmp_ne_u64_e32 vcc, 0, v[14:15]
	ds_write_b64 v0, v[8:9]
	v_cndmask_b32_e32 v9, 0, v2, vcc
	v_cndmask_b32_e32 v8, 0, v1, vcc
	ds_write_b64 v0, v[8:9]
.LBB4_450:                              ;   in Loop: Header=BB4_448 Depth=3
	s_or_b64 exec, exec, s[22:23]
	v_and_b32_e32 v1, 4, v55
	v_cmp_ne_u32_e32 vcc, 0, v1
	s_mov_b64 s[48:49], -1
	s_and_saveexec_b64 s[22:23], vcc
	s_cbranch_execnz .LBB4_453
; %bb.451:                              ;   in Loop: Header=BB4_448 Depth=3
	s_or_b64 exec, exec, s[22:23]
	s_xor_b64 s[22:23], s[48:49], -1
	s_and_saveexec_b64 s[48:49], s[22:23]
	s_cbranch_execnz .LBB4_464
.LBB4_452:                              ;   in Loop: Header=BB4_448 Depth=3
	s_or_b64 exec, exec, s[48:49]
	s_and_saveexec_b64 s[22:23], s[6:7]
	s_cbranch_execnz .LBB4_473
	s_branch .LBB4_491
.LBB4_453:                              ;   in Loop: Header=BB4_448 Depth=3
	v_add_co_u32_e32 v8, vcc, 2, v16
	v_addc_co_u32_e32 v9, vcc, 0, v17, vcc
	v_cmp_lt_u64_e32 vcc, v[26:27], v[8:9]
	v_mov_b32_e32 v12, 1
	s_and_saveexec_b64 s[48:49], vcc
	s_cbranch_execz .LBB4_463
; %bb.454:                              ;   in Loop: Header=BB4_448 Depth=3
	s_mov_b64 s[50:51], 0
	v_mov_b32_e32 v12, 0
                                        ; implicit-def: $sgpr52_sgpr53
	s_branch .LBB4_458
.LBB4_455:                              ;   in Loop: Header=BB4_458 Depth=4
	s_or_b64 exec, exec, s[60:61]
	v_mov_b32_e32 v13, 0
	s_orn2_b64 s[58:59], s[58:59], exec
.LBB4_456:                              ;   in Loop: Header=BB4_458 Depth=4
	s_or_b64 exec, exec, s[56:57]
	s_andn2_b64 vcc, s[52:53], exec
	s_and_b64 s[52:53], s[58:59], exec
	s_or_b64 s[52:53], vcc, s[52:53]
	v_mov_b32_e32 v12, v13
.LBB4_457:                              ;   in Loop: Header=BB4_458 Depth=4
	s_or_b64 exec, exec, s[54:55]
	s_waitcnt vmcnt(0) lgkmcnt(0)
	v_cmp_ge_u64_e32 vcc, v[26:27], v[8:9]
	s_xor_b64 s[54:55], s[52:53], -1
	s_or_b64 vcc, s[54:55], vcc
	s_and_b64 vcc, exec, vcc
	s_or_b64 s[50:51], vcc, s[50:51]
	s_andn2_b64 exec, exec, s[50:51]
	s_cbranch_execz .LBB4_462
.LBB4_458:                              ;   Parent Loop BB4_53 Depth=1
                                        ;     Parent Loop BB4_90 Depth=2
                                        ;       Parent Loop BB4_448 Depth=3
                                        ; =>      This Inner Loop Header: Depth=4
	s_sleep 1
	flat_load_dwordx2 v[26:27], v[18:19] glc
	v_and_b32_e32 v1, 64, v55
	v_cmp_eq_u32_e32 vcc, 0, v1
	s_andn2_b64 s[52:53], s[52:53], exec
	s_and_saveexec_b64 s[54:55], vcc
	s_cbranch_execz .LBB4_457
; %bb.459:                              ;   in Loop: Header=BB4_458 Depth=4
	v_add_u32_e32 v13, 1, v12
	v_cmp_lt_i32_e32 vcc, s71, v12
	s_mov_b64 s[58:59], -1
	s_and_saveexec_b64 s[56:57], vcc
	s_cbranch_execz .LBB4_456
; %bb.460:                              ;   in Loop: Header=BB4_458 Depth=4
	s_trap 2
	ds_read_b64 v[12:13], v0
	s_waitcnt vmcnt(0) lgkmcnt(0)
	flat_load_dword v12, v[12:13] glc
	s_waitcnt vmcnt(0) lgkmcnt(0)
	buffer_invl2
	buffer_wbinvl1_vol
	v_cmp_ne_u32_e32 vcc, 0, v12
	s_and_saveexec_b64 s[60:61], vcc
	s_cbranch_execz .LBB4_455
; %bb.461:                              ;   in Loop: Header=BB4_458 Depth=4
	v_or_b32_e32 v55, 64, v55
	s_xor_b64 s[58:59], exec, -1
	ds_write_b32 v0, v12
	s_trap 2
	s_branch .LBB4_455
.LBB4_462:                              ;   in Loop: Header=BB4_448 Depth=3
	s_or_b64 exec, exec, s[50:51]
	v_and_b32_e32 v12, 4, v55
.LBB4_463:                              ;   in Loop: Header=BB4_448 Depth=3
	s_or_b64 exec, exec, s[48:49]
	v_cmp_eq_u32_e32 vcc, 0, v12
	s_orn2_b64 s[48:49], vcc, exec
	;;#ASMSTART
	s_wakeup
	;;#ASMEND
	s_or_b64 exec, exec, s[22:23]
	s_xor_b64 s[22:23], s[48:49], -1
	s_and_saveexec_b64 s[48:49], s[22:23]
	s_cbranch_execz .LBB4_452
.LBB4_464:                              ;   in Loop: Header=BB4_448 Depth=3
	v_and_b32_e32 v1, 0x100, v55
	v_cmp_ne_u32_e32 vcc, 0, v1
	v_and_b32_e32 v14, 7, v16
	s_mov_b64 s[22:23], -1
                                        ; implicit-def: $vgpr8_vgpr9
	s_and_saveexec_b64 s[50:51], vcc
	s_cbranch_execz .LBB4_468
; %bb.465:                              ;   in Loop: Header=BB4_448 Depth=3
	v_mad_u64_u32 v[12:13], s[22:23], v14, 24, v[4:5]
	flat_load_dword v1, v[12:13]
                                        ; implicit-def: $vgpr8_vgpr9
	s_waitcnt vmcnt(0) lgkmcnt(0)
	v_cmp_ne_u32_e32 vcc, 1, v1
	v_cmp_eq_u32_e64 s[22:23], 1, v1
	s_and_saveexec_b64 s[52:53], s[22:23]
	s_cbranch_execz .LBB4_467
; %bb.466:                              ;   in Loop: Header=BB4_448 Depth=3
	flat_load_dword v8, v[12:13] offset:4 glc
	s_waitcnt vmcnt(0) lgkmcnt(0)
	v_ashrrev_i32_e32 v9, 31, v8
.LBB4_467:                              ;   in Loop: Header=BB4_448 Depth=3
	s_or_b64 exec, exec, s[52:53]
	s_orn2_b64 s[22:23], vcc, exec
.LBB4_468:                              ;   in Loop: Header=BB4_448 Depth=3
	s_or_b64 exec, exec, s[50:51]
	s_and_saveexec_b64 vcc, s[22:23]
; %bb.469:                              ;   in Loop: Header=BB4_448 Depth=3
	v_mad_i64_i32 v[8:9], s[22:23], v14, v20, 0
; %bb.470:                              ;   in Loop: Header=BB4_448 Depth=3
	s_or_b64 exec, exec, vcc
	v_add_co_u32_e32 v8, vcc, v22, v8
	v_addc_co_u32_e32 v9, vcc, v23, v9, vcc
	v_and_b32_e32 v1, 0x2000, v55
	v_cmp_ne_u32_e32 vcc, 0, v1
	ds_write_b64 v0, v[8:9] offset:720
	s_and_saveexec_b64 s[22:23], vcc
	s_cbranch_execz .LBB4_472
; %bb.471:                              ;   in Loop: Header=BB4_448 Depth=3
	ds_read_b64 v[8:9], v0 offset:584
	s_waitcnt lgkmcnt(0)
	v_add_co_u32_e32 v8, vcc, 1, v8
	v_addc_co_u32_e32 v9, vcc, 0, v9, vcc
	ds_write_b64 v0, v[8:9] offset:584
.LBB4_472:                              ;   in Loop: Header=BB4_448 Depth=3
	s_or_b64 exec, exec, s[22:23]
	v_add_co_u32_e32 v16, vcc, 2, v16
	v_addc_co_u32_e32 v17, vcc, 0, v17, vcc
	s_or_b64 exec, exec, s[48:49]
	s_and_saveexec_b64 s[22:23], s[6:7]
	s_cbranch_execz .LBB4_491
.LBB4_473:                              ;   in Loop: Header=BB4_448 Depth=3
	s_and_saveexec_b64 vcc, s[28:29]
	s_xor_b64 s[48:49], exec, vcc
	s_cbranch_execz .LBB4_488
; %bb.474:                              ;   in Loop: Header=BB4_448 Depth=3
	s_and_saveexec_b64 s[50:51], s[12:13]
	s_cbranch_execz .LBB4_487
; %bb.475:                              ;   in Loop: Header=BB4_448 Depth=3
	s_mov_b64 s[54:55], exec
	v_mbcnt_lo_u32_b32 v1, s54, 0
	v_mbcnt_hi_u32_b32 v1, s55, v1
	v_cmp_eq_u32_e32 vcc, 0, v1
	s_waitcnt vmcnt(0) lgkmcnt(0)
	buffer_wbinvl1_vol
	s_and_saveexec_b64 s[52:53], vcc
	s_cbranch_execz .LBB4_477
; %bb.476:                              ;   in Loop: Header=BB4_448 Depth=3
	s_bcnt1_i32_b64 vcc_lo, s[54:55]
	v_mov_b32_e32 v8, vcc_lo
	v_mov_b32_e32 v9, v36
	ds_add_u64 v0, v[8:9]
	s_trap 2
.LBB4_477:                              ;   in Loop: Header=BB4_448 Depth=3
	s_or_b64 exec, exec, s[52:53]
	s_trap 2
	ds_read_b64 v[8:9], v0
	v_add_co_u32_e32 v10, vcc, v10, v30
	v_addc_co_u32_e32 v11, vcc, 0, v11, vcc
	s_waitcnt lgkmcnt(0)
	v_cmp_lt_u64_e32 vcc, v[8:9], v[10:11]
	s_and_saveexec_b64 s[52:53], vcc
	s_cbranch_execz .LBB4_486
; %bb.478:                              ;   in Loop: Header=BB4_448 Depth=3
	s_mov_b32 s65, 0
	s_mov_b64 s[54:55], 0
                                        ; implicit-def: $sgpr56_sgpr57
                                        ; implicit-def: $sgpr58_sgpr59
	s_branch .LBB4_480
.LBB4_479:                              ;   in Loop: Header=BB4_480 Depth=4
	s_or_b64 exec, exec, s[62:63]
	s_and_b64 vcc, exec, vcc
	s_or_b64 s[54:55], vcc, s[54:55]
	s_andn2_b64 vcc, s[56:57], exec
	s_and_b64 s[56:57], s[58:59], exec
	s_or_b64 s[56:57], vcc, s[56:57]
	s_andn2_b64 exec, exec, s[54:55]
	s_cbranch_execz .LBB4_484
.LBB4_480:                              ;   Parent Loop BB4_53 Depth=1
                                        ;     Parent Loop BB4_90 Depth=2
                                        ;       Parent Loop BB4_448 Depth=3
                                        ; =>      This Inner Loop Header: Depth=4
	s_add_i32 s65, s65, 1
	s_cmpk_lg_i32 s65, 0x2710
	s_cselect_b64 s[60:61], -1, 0
	s_and_b64 vcc, exec, s[60:61]
                                        ; implicit-def: $sgpr62_sgpr63
	s_cbranch_vccnz .LBB4_482
; %bb.481:                              ;   in Loop: Header=BB4_480 Depth=4
	s_trap 2
	ds_read_b64 v[8:9], v0
	s_andn2_b64 s[60:61], s[60:61], exec
	s_mov_b32 s65, 0
	s_mov_b64 s[62:63], -1
	s_waitcnt lgkmcnt(0)
	flat_load_dword v1, v[8:9] glc
	s_waitcnt vmcnt(0) lgkmcnt(0)
	buffer_invl2
	buffer_wbinvl1_vol
	v_cmp_eq_u32_e32 vcc, 0, v1
	s_and_b64 vcc, vcc, exec
	s_or_b64 s[60:61], s[60:61], vcc
.LBB4_482:                              ;   in Loop: Header=BB4_480 Depth=4
	s_andn2_b64 s[58:59], s[58:59], exec
	s_and_b64 s[62:63], s[62:63], exec
	s_mov_b64 vcc, -1
	s_or_b64 s[58:59], s[58:59], s[62:63]
	s_and_saveexec_b64 s[62:63], s[60:61]
	s_cbranch_execz .LBB4_479
; %bb.483:                              ;   in Loop: Header=BB4_480 Depth=4
	s_sleep 1
	s_trap 2
	ds_read_b64 v[8:9], v0
	s_andn2_b64 s[58:59], s[58:59], exec
	s_waitcnt lgkmcnt(0)
	v_cmp_ge_u64_e32 vcc, v[8:9], v[10:11]
	s_orn2_b64 vcc, vcc, exec
	s_branch .LBB4_479
.LBB4_484:                              ;   in Loop: Header=BB4_448 Depth=3
	s_or_b64 exec, exec, s[54:55]
	s_and_saveexec_b64 vcc, s[56:57]
	s_xor_b64 vcc, exec, vcc
	s_cbranch_execz .LBB4_486
; %bb.485:                              ;   in Loop: Header=BB4_448 Depth=3
	ds_write_b32 v0, v31
	s_trap 2
.LBB4_486:                              ;   in Loop: Header=BB4_448 Depth=3
	s_or_b64 exec, exec, s[52:53]
	;;#ASMSTART
	s_wakeup
	;;#ASMEND
.LBB4_487:                              ;   in Loop: Header=BB4_448 Depth=3
	s_or_b64 exec, exec, s[50:51]
.LBB4_488:                              ;   in Loop: Header=BB4_448 Depth=3
	s_andn2_saveexec_b64 vcc, s[48:49]
	s_cbranch_execz .LBB4_490
; %bb.489:                              ;   in Loop: Header=BB4_448 Depth=3
	s_waitcnt vmcnt(0) lgkmcnt(0)
	buffer_wbinvl1_vol
	s_barrier
.LBB4_490:                              ;   in Loop: Header=BB4_448 Depth=3
	s_or_b64 exec, exec, vcc
.LBB4_491:                              ;   in Loop: Header=BB4_448 Depth=3
	s_or_b64 exec, exec, s[22:23]
	s_trap 2
	ds_read_b32 v8, v0
	v_and_b32_e32 v1, 0x4000, v55
	v_cmp_ne_u32_e32 vcc, 0, v1
	s_xor_b64 s[22:23], s[14:15], -1
	s_and_b64 vcc, s[22:23], vcc
	s_and_saveexec_b64 s[22:23], vcc
	s_cbranch_execz .LBB4_510
; %bb.492:                              ;   in Loop: Header=BB4_448 Depth=3
	s_and_saveexec_b64 vcc, s[28:29]
	s_xor_b64 s[48:49], exec, vcc
	s_cbranch_execz .LBB4_507
; %bb.493:                              ;   in Loop: Header=BB4_448 Depth=3
	s_and_saveexec_b64 s[50:51], s[12:13]
	s_cbranch_execz .LBB4_506
; %bb.494:                              ;   in Loop: Header=BB4_448 Depth=3
	s_mov_b64 s[54:55], exec
	v_mbcnt_lo_u32_b32 v1, s54, 0
	v_mbcnt_hi_u32_b32 v1, s55, v1
	v_cmp_eq_u32_e32 vcc, 0, v1
	s_waitcnt vmcnt(0) lgkmcnt(0)
	buffer_wbinvl1_vol
	s_and_saveexec_b64 s[52:53], vcc
	s_cbranch_execz .LBB4_496
; %bb.495:                              ;   in Loop: Header=BB4_448 Depth=3
	s_bcnt1_i32_b64 vcc_lo, s[54:55]
	v_mov_b32_e32 v12, vcc_lo
	v_mov_b32_e32 v13, v36
	ds_add_u64 v0, v[12:13]
	s_trap 2
.LBB4_496:                              ;   in Loop: Header=BB4_448 Depth=3
	s_or_b64 exec, exec, s[52:53]
	s_trap 2
	ds_read_b64 v[12:13], v0
	v_add_co_u32_e32 v10, vcc, v10, v30
	v_addc_co_u32_e32 v11, vcc, 0, v11, vcc
	s_waitcnt lgkmcnt(0)
	v_cmp_lt_u64_e32 vcc, v[12:13], v[10:11]
	s_and_saveexec_b64 s[52:53], vcc
	s_cbranch_execz .LBB4_505
; %bb.497:                              ;   in Loop: Header=BB4_448 Depth=3
	s_mov_b32 s65, 0
	s_mov_b64 s[54:55], 0
                                        ; implicit-def: $sgpr56_sgpr57
                                        ; implicit-def: $sgpr58_sgpr59
	s_branch .LBB4_499
.LBB4_498:                              ;   in Loop: Header=BB4_499 Depth=4
	s_or_b64 exec, exec, s[62:63]
	s_and_b64 vcc, exec, vcc
	s_or_b64 s[54:55], vcc, s[54:55]
	s_andn2_b64 vcc, s[56:57], exec
	s_and_b64 s[56:57], s[58:59], exec
	s_or_b64 s[56:57], vcc, s[56:57]
	s_andn2_b64 exec, exec, s[54:55]
	s_cbranch_execz .LBB4_503
.LBB4_499:                              ;   Parent Loop BB4_53 Depth=1
                                        ;     Parent Loop BB4_90 Depth=2
                                        ;       Parent Loop BB4_448 Depth=3
                                        ; =>      This Inner Loop Header: Depth=4
	s_add_i32 s65, s65, 1
	s_cmpk_lg_i32 s65, 0x2710
	s_cselect_b64 s[60:61], -1, 0
	s_and_b64 vcc, exec, s[60:61]
                                        ; implicit-def: $sgpr62_sgpr63
	s_cbranch_vccnz .LBB4_501
; %bb.500:                              ;   in Loop: Header=BB4_499 Depth=4
	s_trap 2
	ds_read_b64 v[12:13], v0
	s_andn2_b64 s[60:61], s[60:61], exec
	s_mov_b32 s65, 0
	s_mov_b64 s[62:63], -1
	s_waitcnt lgkmcnt(0)
	flat_load_dword v1, v[12:13] glc
	s_waitcnt vmcnt(0) lgkmcnt(0)
	buffer_invl2
	buffer_wbinvl1_vol
	v_cmp_eq_u32_e32 vcc, 0, v1
	s_and_b64 vcc, vcc, exec
	s_or_b64 s[60:61], s[60:61], vcc
.LBB4_501:                              ;   in Loop: Header=BB4_499 Depth=4
	s_andn2_b64 s[58:59], s[58:59], exec
	s_and_b64 s[62:63], s[62:63], exec
	s_mov_b64 vcc, -1
	s_or_b64 s[58:59], s[58:59], s[62:63]
	s_and_saveexec_b64 s[62:63], s[60:61]
	s_cbranch_execz .LBB4_498
; %bb.502:                              ;   in Loop: Header=BB4_499 Depth=4
	s_sleep 1
	s_trap 2
	ds_read_b64 v[12:13], v0
	s_andn2_b64 s[58:59], s[58:59], exec
	s_waitcnt lgkmcnt(0)
	v_cmp_ge_u64_e32 vcc, v[12:13], v[10:11]
	s_orn2_b64 vcc, vcc, exec
	s_branch .LBB4_498
.LBB4_503:                              ;   in Loop: Header=BB4_448 Depth=3
	s_or_b64 exec, exec, s[54:55]
	s_and_saveexec_b64 vcc, s[56:57]
	s_xor_b64 vcc, exec, vcc
	s_cbranch_execz .LBB4_505
; %bb.504:                              ;   in Loop: Header=BB4_448 Depth=3
	ds_write_b32 v0, v31
	s_trap 2
.LBB4_505:                              ;   in Loop: Header=BB4_448 Depth=3
	s_or_b64 exec, exec, s[52:53]
	;;#ASMSTART
	s_wakeup
	;;#ASMEND
.LBB4_506:                              ;   in Loop: Header=BB4_448 Depth=3
	s_or_b64 exec, exec, s[50:51]
.LBB4_507:                              ;   in Loop: Header=BB4_448 Depth=3
	s_andn2_saveexec_b64 vcc, s[48:49]
	s_cbranch_execz .LBB4_509
; %bb.508:                              ;   in Loop: Header=BB4_448 Depth=3
	s_waitcnt vmcnt(0) lgkmcnt(0)
	buffer_wbinvl1_vol
	s_barrier
.LBB4_509:                              ;   in Loop: Header=BB4_448 Depth=3
	s_or_b64 exec, exec, vcc
.LBB4_510:                              ;   in Loop: Header=BB4_448 Depth=3
	s_or_b64 exec, exec, s[22:23]
	s_trap 2
	ds_read_b64 v[12:13], v0
	v_sub_u32_e32 v1, v32, v37
	v_min_i32_e32 v33, v33, v1
	v_mov_b32_e32 v40, 0
	s_waitcnt lgkmcnt(0)
	v_readfirstlane_b32 s22, v12
	v_readfirstlane_b32 s23, v13
	s_cmp_eq_u64 s[22:23], 0
	s_cselect_b64 s[22:23], -1, 0
	s_or_b64 s[22:23], s[22:23], s[22:23]
	s_and_b64 vcc, exec, s[22:23]
	s_cbranch_vccnz .LBB4_540
; %bb.511:                              ;   in Loop: Header=BB4_448 Depth=3
	s_mov_b64 s[22:23], -1
	s_and_saveexec_b64 s[48:49], s[16:17]
	s_cbranch_execz .LBB4_513
; %bb.512:                              ;   in Loop: Header=BB4_448 Depth=3
	ds_read_b32 v1, v0 offset:720
	s_waitcnt lgkmcnt(0)
	v_and_b32_e32 v1, 15, v1
	v_cmp_eq_u32_e32 vcc, 0, v1
	s_orn2_b64 s[22:23], vcc, exec
.LBB4_513:                              ;   in Loop: Header=BB4_448 Depth=3
	s_or_b64 exec, exec, s[48:49]
	s_and_saveexec_b64 s[48:49], s[10:11]
	s_cbranch_execz .LBB4_515
; %bb.514:                              ;   in Loop: Header=BB4_448 Depth=3
	ds_read_b32 v1, v0 offset:784
	s_waitcnt lgkmcnt(0)
	v_and_b32_e32 v1, 15, v1
	v_cmp_eq_u32_e32 vcc, 0, v1
	s_and_b64 vcc, s[22:23], vcc
	s_andn2_b64 s[22:23], s[22:23], exec
	s_and_b64 vcc, vcc, exec
	s_or_b64 s[22:23], s[22:23], vcc
.LBB4_515:                              ;   in Loop: Header=BB4_448 Depth=3
	s_or_b64 exec, exec, s[48:49]
	v_cmp_eq_u32_e32 vcc, 0, v8
	s_xor_b64 s[22:23], s[22:23], -1
	v_cndmask_b32_e32 v40, 0, v33, vcc
	v_cndmask_b32_e64 v1, 0, 1, s[22:23]
	v_mov_b32_e32 v41, 0
	s_mov_b64 s[50:51], -1
	;;#ASMSTART
	;;#ASMEND
	v_cmp_ne_u32_e32 vcc, 0, v1
	v_mov_b32_e32 v42, v40
	v_mov_b32_e32 v43, v0
	;; [unrolled: 1-line block ×3, first 2 shown]
	s_cbranch_vccz .LBB4_517
; %bb.516:                              ;   in Loop: Header=BB4_448 Depth=3
	s_and_saveexec_b64 s[22:23], s[50:51]
	s_cbranch_execnz .LBB4_530
	s_branch .LBB4_539
.LBB4_517:                              ;   in Loop: Header=BB4_448 Depth=3
	v_ashrrev_i32_e32 v1, 31, v40
	v_lshrrev_b32_e32 v1, 21, v1
	v_add_u32_e32 v1, v40, v1
	v_ashrrev_i32_e32 v14, 11, v1
	v_sub_u32_e32 v15, v14, v56
	v_cmp_lt_i32_e32 vcc, 0, v15
	s_and_saveexec_b64 s[22:23], vcc
	s_cbranch_execz .LBB4_521
; %bb.518:                              ;   in Loop: Header=BB4_448 Depth=3
	s_trap 2
	ds_read_b64 v[8:9], v0
	v_accvgpr_read_b32 v12, a20
	s_mov_b64 s[48:49], 0
	v_accvgpr_read_b32 v13, a21
.LBB4_519:                              ;   Parent Loop BB4_53 Depth=1
                                        ;     Parent Loop BB4_90 Depth=2
                                        ;       Parent Loop BB4_448 Depth=3
                                        ; =>      This Inner Loop Header: Depth=4
	s_waitcnt lgkmcnt(0)
	v_add_co_u32_e32 v58, vcc, v8, v12
	v_addc_co_u32_e32 v59, vcc, v9, v13, vcc
	global_load_dwordx4 v[48:51], v[58:59], off glc slc
	global_load_dwordx4 v[42:45], v[58:59], off offset:1024 glc slc
	v_add_co_u32_e32 v12, vcc, v12, v3
	v_sub_u32_e32 v15, v15, v30
	v_addc_co_u32_e32 v13, vcc, v13, v28, vcc
	v_cmp_gt_i32_e32 vcc, 1, v15
	s_or_b64 s[48:49], vcc, s[48:49]
	s_waitcnt vmcnt(0)
	global_store_dwordx4 v[58:59], v[48:51], off glc slc
	global_store_dwordx4 v[58:59], v[42:45], off offset:1024 glc slc
	s_andn2_b64 exec, exec, s[48:49]
	s_cbranch_execnz .LBB4_519
; %bb.520:                              ;   in Loop: Header=BB4_448 Depth=3
	s_or_b64 exec, exec, s[48:49]
	v_accvgpr_read_b32 v53, a23
.LBB4_521:                              ;   in Loop: Header=BB4_448 Depth=3
	s_or_b64 exec, exec, s[22:23]
	v_lshlrev_b32_e32 v14, 11, v14
	v_cmp_ne_u32_e32 vcc, v40, v14
	s_mov_b64 s[50:51], 0
	v_mov_b32_e32 v41, 0
                                        ; implicit-def: $vgpr42
                                        ; implicit-def: $vgpr43
                                        ; implicit-def: $vgpr12
	s_and_saveexec_b64 s[48:49], vcc
	s_cbranch_execz .LBB4_529
; %bb.522:                              ;   in Loop: Header=BB4_448 Depth=3
	v_lshlrev_b32_e32 v2, 6, v15
	v_accvgpr_read_b32 v6, a7
	v_sub_u32_e32 v2, v6, v2
	v_ashrrev_i32_e32 v6, 31, v2
	v_lshrrev_b32_e32 v6, 26, v6
	v_add_u32_e32 v6, v2, v6
	v_ashrrev_i32_e32 v7, 6, v6
	v_and_b32_e32 v6, 0xffffffc0, v6
	v_sub_u32_e32 v15, v2, v6
	v_sub_u32_e32 v1, v40, v14
	v_lshlrev_b32_e32 v2, 4, v15
	v_lshl_add_u32 v12, v7, 10, v2
	v_ashrrev_i32_e32 v2, 31, v1
	v_lshrrev_b32_e32 v2, 22, v2
	v_add_u32_e32 v2, v1, v2
	v_and_b32_e32 v46, 0xfffffc00, v2
	v_sub_u32_e32 v59, v1, v46
	v_ashrrev_i32_e32 v6, 10, v2
	v_cmp_lt_i32_e32 vcc, 15, v59
	v_sub_u32_e32 v41, v1, v12
	v_addc_co_u32_e64 v1, s[22:23], 0, v6, vcc
	v_sub_u32_e32 v58, v1, v7
	v_cmp_lt_i32_e64 s[22:23], 15, v41
	s_and_saveexec_b64 s[50:51], s[22:23]
	s_cbranch_execz .LBB4_526
; %bb.523:                              ;   in Loop: Header=BB4_448 Depth=3
	s_trap 2
	ds_read_b64 v[8:9], v0
	v_add_u32_e32 v12, v12, v14
	v_ashrrev_i32_e32 v13, 31, v12
	s_mov_b64 s[52:53], 0
.LBB4_524:                              ;   Parent Loop BB4_53 Depth=1
                                        ;     Parent Loop BB4_90 Depth=2
                                        ;       Parent Loop BB4_448 Depth=3
                                        ; =>      This Inner Loop Header: Depth=4
	s_waitcnt lgkmcnt(0)
	v_add_co_u32_e64 v42, s[22:23], v8, v12
	v_addc_co_u32_e64 v43, s[22:23], v9, v13, s[22:23]
	global_load_dwordx4 v[48:51], v[42:43], off glc slc
	v_add_co_u32_e64 v12, s[22:23], v12, v29
	v_sub_u32_e32 v41, v41, v52
	v_addc_co_u32_e64 v13, s[22:23], v13, v62, s[22:23]
	v_cmp_gt_i32_e64 s[22:23], 16, v41
	v_sub_u32_e32 v58, v58, v30
	s_or_b64 s[52:53], s[22:23], s[52:53]
	s_waitcnt vmcnt(0)
	global_store_dwordx4 v[42:43], v[48:51], off glc slc
	s_andn2_b64 exec, exec, s[52:53]
	s_cbranch_execnz .LBB4_524
; %bb.525:                              ;   in Loop: Header=BB4_448 Depth=3
	s_or_b64 exec, exec, s[52:53]
.LBB4_526:                              ;   in Loop: Header=BB4_448 Depth=3
	s_or_b64 exec, exec, s[50:51]
	v_and_b32_e32 v8, 15, v40
	v_cndmask_b32_e32 v42, v59, v8, vcc
	v_cmp_ne_u32_e64 s[22:23], 0, v42
	s_mov_b64 s[50:51], 0
	v_mov_b32_e32 v41, 0
                                        ; implicit-def: $vgpr43
                                        ; implicit-def: $vgpr12
	s_and_saveexec_b64 s[52:53], s[22:23]
	s_cbranch_execz .LBB4_528
; %bb.527:                              ;   in Loop: Header=BB4_448 Depth=3
	v_sub_u32_e32 v1, v59, v8
	v_cndmask_b32_e32 v1, 0, v1, vcc
	v_cmp_lt_i32_e32 vcc, 0, v58
	v_add3_u32 v41, v46, v14, v1
	v_cndmask_b32_e32 v1, 0, v30, vcc
	v_sub_u32_e32 v1, v1, v58
	v_lshl_add_u32 v43, v1, 6, v15
	v_ashrrev_i32_e32 v1, 31, v43
	v_lshrrev_b32_e32 v1, 26, v1
	v_add_u32_e32 v1, v43, v1
	s_mov_b64 s[50:51], exec
	v_ashrrev_i32_e32 v12, 6, v1
.LBB4_528:                              ;   in Loop: Header=BB4_448 Depth=3
	s_or_b64 exec, exec, s[52:53]
	s_and_b64 s[50:51], s[50:51], exec
.LBB4_529:                              ;   in Loop: Header=BB4_448 Depth=3
	s_or_b64 exec, exec, s[48:49]
	s_and_saveexec_b64 s[22:23], s[50:51]
	s_cbranch_execz .LBB4_539
.LBB4_530:                              ;   in Loop: Header=BB4_448 Depth=3
	v_ashrrev_i32_e32 v1, 31, v42
	v_lshrrev_b32_e32 v1, 22, v1
	v_add_u32_e32 v1, v42, v1
	v_ashrrev_i32_e32 v59, 10, v1
	v_sub_u32_e32 v46, v59, v12
	v_ashrrev_i32_e32 v1, 31, v43
	v_cmp_lt_i32_e32 vcc, 0, v46
	v_lshrrev_b32_e32 v58, 26, v1
	s_and_saveexec_b64 s[48:49], vcc
	s_cbranch_execz .LBB4_534
; %bb.531:                              ;   in Loop: Header=BB4_448 Depth=3
	s_trap 2
	ds_read_b64 v[8:9], v0
	v_add_u32_e32 v1, v43, v58
	v_and_b32_e32 v1, 0xffffffc0, v1
	v_sub_u32_e32 v1, v43, v1
	v_lshlrev_b32_e32 v2, 10, v12
	v_add3_u32 v12, v41, v1, v2
	v_accvgpr_write_b32 a36, v34
	v_accvgpr_write_b32 a33, v32
	v_ashrrev_i32_e32 v13, 31, v12
	s_mov_b64 s[50:51], 0
	s_waitcnt lgkmcnt(0)
	v_pk_mov_b32 v[14:15], v[8:9], v[8:9] op_sel:[0,1]
.LBB4_532:                              ;   Parent Loop BB4_53 Depth=1
                                        ;     Parent Loop BB4_90 Depth=2
                                        ;       Parent Loop BB4_448 Depth=3
                                        ; =>      This Inner Loop Header: Depth=4
	v_add_co_u32_e32 v48, vcc, v12, v14
	v_addc_co_u32_e32 v49, vcc, v13, v15, vcc
	flat_load_ubyte v1, v[48:49] glc slc
	flat_load_ubyte v2, v[48:49] offset:64 glc slc
	flat_load_ubyte v6, v[48:49] offset:128 glc slc
	;; [unrolled: 1-line block ×15, first 2 shown]
	v_add_co_u32_e32 v48, vcc, v12, v8
	v_addc_co_u32_e32 v49, vcc, v13, v9, vcc
	v_add_co_u32_e32 v14, vcc, v14, v29
	v_addc_co_u32_e32 v15, vcc, v15, v62, vcc
	v_add_co_u32_e32 v8, vcc, v8, v29
	v_sub_u32_e32 v46, v46, v30
	v_addc_co_u32_e32 v9, vcc, v9, v62, vcc
	v_cmp_gt_i32_e32 vcc, 1, v46
	s_or_b64 s[50:51], vcc, s[50:51]
	s_waitcnt vmcnt(0) lgkmcnt(0)
	flat_store_byte v[48:49], v1 glc slc
	flat_store_byte v[48:49], v2 offset:64 glc slc
	flat_store_byte v[48:49], v6 offset:128 glc slc
	;; [unrolled: 1-line block ×15, first 2 shown]
	s_andn2_b64 exec, exec, s[50:51]
	s_cbranch_execnz .LBB4_532
; %bb.533:                              ;   in Loop: Header=BB4_448 Depth=3
	s_or_b64 exec, exec, s[50:51]
	v_accvgpr_read_b32 v53, a23
	v_accvgpr_read_b32 v32, a33
	;; [unrolled: 1-line block ×3, first 2 shown]
.LBB4_534:                              ;   in Loop: Header=BB4_448 Depth=3
	s_or_b64 exec, exec, s[48:49]
	v_lshlrev_b32_e32 v8, 10, v59
	v_cmp_ne_u32_e32 vcc, v42, v8
	s_and_saveexec_b64 s[48:49], vcc
	s_cbranch_execz .LBB4_538
; %bb.535:                              ;   in Loop: Header=BB4_448 Depth=3
	v_add_u32_e32 v1, v43, v58
	v_and_b32_e32 v1, 0xffffffc0, v1
	v_sub_u32_e32 v1, v43, v1
	v_lshlrev_b32_e32 v2, 6, v46
	v_sub_u32_e32 v1, v1, v2
	v_add_u32_e32 v12, v8, v1
	v_sub_u32_e32 v14, v42, v12
	v_cmp_lt_i32_e32 vcc, 0, v14
	s_and_b64 exec, exec, vcc
	s_cbranch_execz .LBB4_538
; %bb.536:                              ;   in Loop: Header=BB4_448 Depth=3
	s_trap 2
	ds_read_b64 v[8:9], v0
	v_add_u32_e32 v12, v12, v41
	v_ashrrev_i32_e32 v13, 31, v12
	s_mov_b64 s[50:51], 0
.LBB4_537:                              ;   Parent Loop BB4_53 Depth=1
                                        ;     Parent Loop BB4_90 Depth=2
                                        ;       Parent Loop BB4_448 Depth=3
                                        ; =>      This Inner Loop Header: Depth=4
	s_waitcnt lgkmcnt(0)
	v_add_co_u32_e32 v48, vcc, v8, v12
	v_addc_co_u32_e32 v49, vcc, v9, v13, vcc
	flat_load_ubyte v1, v[48:49] glc slc
	v_add_co_u32_e32 v12, vcc, v12, v54
	v_sub_u32_e32 v14, v14, v54
	v_addc_co_u32_e32 v13, vcc, v13, v21, vcc
	v_cmp_gt_i32_e32 vcc, 1, v14
	s_or_b64 s[50:51], vcc, s[50:51]
	s_waitcnt vmcnt(0) lgkmcnt(0)
	flat_store_byte v[48:49], v1 glc slc
	s_andn2_b64 exec, exec, s[50:51]
	s_cbranch_execnz .LBB4_537
.LBB4_538:                              ;   in Loop: Header=BB4_448 Depth=3
	s_or_b64 exec, exec, s[48:49]
.LBB4_539:                              ;   in Loop: Header=BB4_448 Depth=3
	s_or_b64 exec, exec, s[22:23]
.LBB4_540:                              ;   in Loop: Header=BB4_448 Depth=3
	s_and_saveexec_b64 s[22:23], s[6:7]
	s_cbranch_execz .LBB4_559
; %bb.541:                              ;   in Loop: Header=BB4_448 Depth=3
	s_and_saveexec_b64 vcc, s[28:29]
	s_xor_b64 s[48:49], exec, vcc
	s_cbranch_execz .LBB4_556
; %bb.542:                              ;   in Loop: Header=BB4_448 Depth=3
	s_and_saveexec_b64 s[50:51], s[12:13]
	s_cbranch_execz .LBB4_555
; %bb.543:                              ;   in Loop: Header=BB4_448 Depth=3
	s_mov_b64 s[54:55], exec
	v_mbcnt_lo_u32_b32 v1, s54, 0
	v_mbcnt_hi_u32_b32 v1, s55, v1
	v_cmp_eq_u32_e32 vcc, 0, v1
	s_waitcnt vmcnt(0) lgkmcnt(0)
	buffer_wbinvl1_vol
	s_and_saveexec_b64 s[52:53], vcc
	s_cbranch_execz .LBB4_545
; %bb.544:                              ;   in Loop: Header=BB4_448 Depth=3
	s_bcnt1_i32_b64 vcc_lo, s[54:55]
	v_mov_b32_e32 v8, vcc_lo
	v_mov_b32_e32 v9, v36
	ds_add_u64 v0, v[8:9]
	s_trap 2
.LBB4_545:                              ;   in Loop: Header=BB4_448 Depth=3
	s_or_b64 exec, exec, s[52:53]
	s_trap 2
	ds_read_b64 v[8:9], v0
	v_add_co_u32_e32 v10, vcc, v10, v30
	v_addc_co_u32_e32 v11, vcc, 0, v11, vcc
	s_waitcnt lgkmcnt(0)
	v_cmp_lt_u64_e32 vcc, v[8:9], v[10:11]
	s_and_saveexec_b64 s[52:53], vcc
	s_cbranch_execz .LBB4_554
; %bb.546:                              ;   in Loop: Header=BB4_448 Depth=3
	s_mov_b32 s65, 0
	s_mov_b64 s[54:55], 0
                                        ; implicit-def: $sgpr56_sgpr57
                                        ; implicit-def: $sgpr58_sgpr59
	s_branch .LBB4_548
.LBB4_547:                              ;   in Loop: Header=BB4_548 Depth=4
	s_or_b64 exec, exec, s[62:63]
	s_and_b64 vcc, exec, vcc
	s_or_b64 s[54:55], vcc, s[54:55]
	s_andn2_b64 vcc, s[56:57], exec
	s_and_b64 s[56:57], s[58:59], exec
	s_or_b64 s[56:57], vcc, s[56:57]
	s_andn2_b64 exec, exec, s[54:55]
	s_cbranch_execz .LBB4_552
.LBB4_548:                              ;   Parent Loop BB4_53 Depth=1
                                        ;     Parent Loop BB4_90 Depth=2
                                        ;       Parent Loop BB4_448 Depth=3
                                        ; =>      This Inner Loop Header: Depth=4
	s_add_i32 s65, s65, 1
	s_cmpk_lg_i32 s65, 0x2710
	s_cselect_b64 s[60:61], -1, 0
	s_and_b64 vcc, exec, s[60:61]
                                        ; implicit-def: $sgpr62_sgpr63
	s_cbranch_vccnz .LBB4_550
; %bb.549:                              ;   in Loop: Header=BB4_548 Depth=4
	s_trap 2
	ds_read_b64 v[8:9], v0
	s_andn2_b64 s[60:61], s[60:61], exec
	s_mov_b32 s65, 0
	s_mov_b64 s[62:63], -1
	s_waitcnt lgkmcnt(0)
	flat_load_dword v1, v[8:9] glc
	s_waitcnt vmcnt(0) lgkmcnt(0)
	buffer_invl2
	buffer_wbinvl1_vol
	v_cmp_eq_u32_e32 vcc, 0, v1
	s_and_b64 vcc, vcc, exec
	s_or_b64 s[60:61], s[60:61], vcc
.LBB4_550:                              ;   in Loop: Header=BB4_548 Depth=4
	s_andn2_b64 s[58:59], s[58:59], exec
	s_and_b64 s[62:63], s[62:63], exec
	s_mov_b64 vcc, -1
	s_or_b64 s[58:59], s[58:59], s[62:63]
	s_and_saveexec_b64 s[62:63], s[60:61]
	s_cbranch_execz .LBB4_547
; %bb.551:                              ;   in Loop: Header=BB4_548 Depth=4
	s_sleep 1
	s_trap 2
	ds_read_b64 v[8:9], v0
	s_andn2_b64 s[58:59], s[58:59], exec
	s_waitcnt lgkmcnt(0)
	v_cmp_ge_u64_e32 vcc, v[8:9], v[10:11]
	s_orn2_b64 vcc, vcc, exec
	s_branch .LBB4_547
.LBB4_552:                              ;   in Loop: Header=BB4_448 Depth=3
	s_or_b64 exec, exec, s[54:55]
	s_and_saveexec_b64 vcc, s[56:57]
	s_xor_b64 vcc, exec, vcc
	s_cbranch_execz .LBB4_554
; %bb.553:                              ;   in Loop: Header=BB4_448 Depth=3
	ds_write_b32 v0, v31
	s_trap 2
.LBB4_554:                              ;   in Loop: Header=BB4_448 Depth=3
	s_or_b64 exec, exec, s[52:53]
	;;#ASMSTART
	s_wakeup
	;;#ASMEND
.LBB4_555:                              ;   in Loop: Header=BB4_448 Depth=3
	s_or_b64 exec, exec, s[50:51]
.LBB4_556:                              ;   in Loop: Header=BB4_448 Depth=3
	s_andn2_saveexec_b64 vcc, s[48:49]
	s_cbranch_execz .LBB4_558
; %bb.557:                              ;   in Loop: Header=BB4_448 Depth=3
	s_waitcnt vmcnt(0) lgkmcnt(0)
	buffer_wbinvl1_vol
	s_barrier
.LBB4_558:                              ;   in Loop: Header=BB4_448 Depth=3
	s_or_b64 exec, exec, vcc
.LBB4_559:                              ;   in Loop: Header=BB4_448 Depth=3
	s_or_b64 exec, exec, s[22:23]
	v_and_b32_e32 v1, 16, v55
	v_cmp_lt_i32_e32 vcc, 0, v40
	v_cmp_ne_u32_e64 s[22:23], 0, v1
	s_and_b64 vcc, s[22:23], vcc
	s_and_saveexec_b64 s[22:23], vcc
	s_cbranch_execz .LBB4_561
; %bb.560:                              ;   in Loop: Header=BB4_448 Depth=3
	s_waitcnt vmcnt(0) lgkmcnt(0)
	buffer_wbinvl1_vol
.LBB4_561:                              ;   in Loop: Header=BB4_448 Depth=3
	s_or_b64 exec, exec, s[22:23]
	v_and_b32_e32 v1, 32, v55
	v_cmp_ne_u32_e32 vcc, 0, v1
	s_and_saveexec_b64 s[22:23], vcc
	s_cbranch_execz .LBB4_447
; %bb.562:                              ;   in Loop: Header=BB4_448 Depth=3
	v_add_co_u32_e32 v16, vcc, 2, v16
	v_addc_co_u32_e32 v17, vcc, 0, v17, vcc
	flat_store_dwordx2 v[18:19], v[16:17]
	s_branch .LBB4_447
.LBB4_563:                              ;   in Loop: Header=BB4_90 Depth=2
	s_or_b64 exec, exec, s[44:45]
.LBB4_564:                              ;   in Loop: Header=BB4_90 Depth=2
	s_or_b64 exec, exec, s[42:43]
	v_cmp_gt_i32_e32 vcc, 2, v8
	s_mov_b64 s[42:43], exec
	v_accvgpr_read_b32 v6, a16
	v_accvgpr_read_b32 v39, a29
	s_and_b64 s[22:23], s[42:43], vcc
	v_accvgpr_read_b32 v7, a17
	v_accvgpr_read_b32 v38, a28
	s_mov_b64 exec, s[22:23]
	s_cbranch_execz .LBB4_89
; %bb.565:                              ;   in Loop: Header=BB4_90 Depth=2
	v_cmp_eq_u32_e64 s[22:23], 0, v8
	s_mov_b64 s[44:45], 0
	s_branch .LBB4_567
.LBB4_566:                              ;   in Loop: Header=BB4_567 Depth=3
	s_or_b64 exec, exec, s[22:23]
	v_add_u32_e32 v37, v33, v37
	s_mov_b64 s[22:23], 0
	s_andn2_b64 exec, exec, s[44:45]
	s_cbranch_execz .LBB4_88
.LBB4_567:                              ;   Parent Loop BB4_53 Depth=1
                                        ;     Parent Loop BB4_90 Depth=2
                                        ; =>    This Loop Header: Depth=3
                                        ;         Child Loop BB4_573 Depth 4
                                        ;         Child Loop BB4_597 Depth 4
	v_and_b32_e32 v1, 4, v55
	s_mov_b64 s[48:49], -1
	v_cmp_ne_u32_e32 vcc, 0, v1
	s_and_saveexec_b64 s[46:47], vcc
	s_cbranch_execz .LBB4_579
; %bb.568:                              ;   in Loop: Header=BB4_567 Depth=3
	v_add_co_u32_e32 v8, vcc, 2, v16
	v_addc_co_u32_e32 v9, vcc, 0, v17, vcc
	v_cmp_lt_u64_e32 vcc, v[26:27], v[8:9]
	v_mov_b32_e32 v12, 1
	s_and_saveexec_b64 s[48:49], vcc
	s_cbranch_execz .LBB4_578
; %bb.569:                              ;   in Loop: Header=BB4_567 Depth=3
	s_mov_b64 s[50:51], 0
	v_mov_b32_e32 v12, 0
                                        ; implicit-def: $sgpr52_sgpr53
	s_branch .LBB4_573
.LBB4_570:                              ;   in Loop: Header=BB4_573 Depth=4
	s_or_b64 exec, exec, s[60:61]
	v_mov_b32_e32 v13, 0
	s_orn2_b64 s[58:59], s[58:59], exec
.LBB4_571:                              ;   in Loop: Header=BB4_573 Depth=4
	s_or_b64 exec, exec, s[56:57]
	s_andn2_b64 vcc, s[52:53], exec
	s_and_b64 s[52:53], s[58:59], exec
	s_or_b64 s[52:53], vcc, s[52:53]
	v_mov_b32_e32 v12, v13
.LBB4_572:                              ;   in Loop: Header=BB4_573 Depth=4
	s_or_b64 exec, exec, s[54:55]
	s_waitcnt vmcnt(0) lgkmcnt(0)
	v_cmp_ge_u64_e32 vcc, v[26:27], v[8:9]
	s_xor_b64 s[54:55], s[52:53], -1
	s_or_b64 vcc, s[54:55], vcc
	s_and_b64 vcc, exec, vcc
	s_or_b64 s[50:51], vcc, s[50:51]
	s_andn2_b64 exec, exec, s[50:51]
	s_cbranch_execz .LBB4_577
.LBB4_573:                              ;   Parent Loop BB4_53 Depth=1
                                        ;     Parent Loop BB4_90 Depth=2
                                        ;       Parent Loop BB4_567 Depth=3
                                        ; =>      This Inner Loop Header: Depth=4
	s_sleep 1
	flat_load_dwordx2 v[26:27], v[18:19] glc
	v_and_b32_e32 v1, 64, v55
	v_cmp_eq_u32_e32 vcc, 0, v1
	s_andn2_b64 s[52:53], s[52:53], exec
	s_and_saveexec_b64 s[54:55], vcc
	s_cbranch_execz .LBB4_572
; %bb.574:                              ;   in Loop: Header=BB4_573 Depth=4
	v_add_u32_e32 v13, 1, v12
	v_cmp_lt_i32_e32 vcc, s71, v12
	s_mov_b64 s[58:59], -1
	s_and_saveexec_b64 s[56:57], vcc
	s_cbranch_execz .LBB4_571
; %bb.575:                              ;   in Loop: Header=BB4_573 Depth=4
	s_trap 2
	ds_read_b64 v[12:13], v0
	s_waitcnt vmcnt(0) lgkmcnt(0)
	flat_load_dword v12, v[12:13] glc
	s_waitcnt vmcnt(0) lgkmcnt(0)
	buffer_invl2
	buffer_wbinvl1_vol
	v_cmp_ne_u32_e32 vcc, 0, v12
	s_and_saveexec_b64 s[60:61], vcc
	s_cbranch_execz .LBB4_570
; %bb.576:                              ;   in Loop: Header=BB4_573 Depth=4
	v_or_b32_e32 v55, 64, v55
	s_xor_b64 s[58:59], exec, -1
	ds_write_b32 v0, v12
	s_trap 2
	s_branch .LBB4_570
.LBB4_577:                              ;   in Loop: Header=BB4_567 Depth=3
	s_or_b64 exec, exec, s[50:51]
	v_and_b32_e32 v12, 4, v55
.LBB4_578:                              ;   in Loop: Header=BB4_567 Depth=3
	s_or_b64 exec, exec, s[48:49]
	v_cmp_eq_u32_e32 vcc, 0, v12
	s_orn2_b64 s[48:49], vcc, exec
	;;#ASMSTART
	s_wakeup
	;;#ASMEND
.LBB4_579:                              ;   in Loop: Header=BB4_567 Depth=3
	s_or_b64 exec, exec, s[46:47]
	s_xor_b64 s[22:23], s[22:23], -1
	s_and_b64 s[22:23], exec, s[22:23]
	s_or_b64 s[44:45], s[22:23], s[44:45]
	s_xor_b64 s[22:23], s[48:49], -1
	s_and_saveexec_b64 s[46:47], s[22:23]
	s_cbranch_execz .LBB4_589
; %bb.580:                              ;   in Loop: Header=BB4_567 Depth=3
	v_and_b32_e32 v1, 0x100, v55
	v_cmp_ne_u32_e32 vcc, 0, v1
	v_and_b32_e32 v14, 7, v16
	s_mov_b64 s[22:23], -1
                                        ; implicit-def: $vgpr8_vgpr9
	s_and_saveexec_b64 s[48:49], vcc
	s_cbranch_execz .LBB4_584
; %bb.581:                              ;   in Loop: Header=BB4_567 Depth=3
	v_mad_u64_u32 v[12:13], s[22:23], v14, 24, v[4:5]
	flat_load_dword v1, v[12:13]
                                        ; implicit-def: $vgpr8_vgpr9
	s_waitcnt vmcnt(0) lgkmcnt(0)
	v_cmp_ne_u32_e32 vcc, 1, v1
	v_cmp_eq_u32_e64 s[22:23], 1, v1
	s_and_saveexec_b64 s[50:51], s[22:23]
	s_cbranch_execz .LBB4_583
; %bb.582:                              ;   in Loop: Header=BB4_567 Depth=3
	flat_load_dword v8, v[12:13] offset:4 glc
	s_waitcnt vmcnt(0) lgkmcnt(0)
	v_ashrrev_i32_e32 v9, 31, v8
.LBB4_583:                              ;   in Loop: Header=BB4_567 Depth=3
	s_or_b64 exec, exec, s[50:51]
	s_orn2_b64 s[22:23], vcc, exec
.LBB4_584:                              ;   in Loop: Header=BB4_567 Depth=3
	s_or_b64 exec, exec, s[48:49]
	s_and_saveexec_b64 vcc, s[22:23]
; %bb.585:                              ;   in Loop: Header=BB4_567 Depth=3
	v_mad_i64_i32 v[8:9], s[22:23], v14, v20, 0
; %bb.586:                              ;   in Loop: Header=BB4_567 Depth=3
	s_or_b64 exec, exec, vcc
	v_add_co_u32_e32 v8, vcc, v22, v8
	v_addc_co_u32_e32 v9, vcc, v23, v9, vcc
	v_and_b32_e32 v1, 0x2000, v55
	v_cmp_ne_u32_e32 vcc, 0, v1
	ds_write_b64 v0, v[8:9] offset:720
	s_and_saveexec_b64 s[22:23], vcc
	s_cbranch_execz .LBB4_588
; %bb.587:                              ;   in Loop: Header=BB4_567 Depth=3
	ds_read_b64 v[8:9], v0 offset:584
	s_waitcnt lgkmcnt(0)
	v_add_co_u32_e32 v8, vcc, 1, v8
	v_addc_co_u32_e32 v9, vcc, 0, v9, vcc
	ds_write_b64 v0, v[8:9] offset:584
.LBB4_588:                              ;   in Loop: Header=BB4_567 Depth=3
	s_or_b64 exec, exec, s[22:23]
	v_add_co_u32_e32 v16, vcc, 2, v16
	v_addc_co_u32_e32 v17, vcc, 0, v17, vcc
.LBB4_589:                              ;   in Loop: Header=BB4_567 Depth=3
	s_or_b64 exec, exec, s[46:47]
	s_and_saveexec_b64 s[22:23], s[6:7]
	s_cbranch_execz .LBB4_608
; %bb.590:                              ;   in Loop: Header=BB4_567 Depth=3
	s_and_saveexec_b64 vcc, s[28:29]
	s_xor_b64 s[46:47], exec, vcc
	s_cbranch_execz .LBB4_605
; %bb.591:                              ;   in Loop: Header=BB4_567 Depth=3
	s_and_saveexec_b64 s[48:49], s[12:13]
	s_cbranch_execz .LBB4_604
; %bb.592:                              ;   in Loop: Header=BB4_567 Depth=3
	s_mov_b64 s[52:53], exec
	v_mbcnt_lo_u32_b32 v1, s52, 0
	v_mbcnt_hi_u32_b32 v1, s53, v1
	v_cmp_eq_u32_e32 vcc, 0, v1
	s_waitcnt vmcnt(0) lgkmcnt(0)
	buffer_wbinvl1_vol
	s_and_saveexec_b64 s[50:51], vcc
	s_cbranch_execz .LBB4_594
; %bb.593:                              ;   in Loop: Header=BB4_567 Depth=3
	s_bcnt1_i32_b64 vcc_lo, s[52:53]
	v_mov_b32_e32 v8, vcc_lo
	v_mov_b32_e32 v9, v36
	ds_add_u64 v0, v[8:9]
	s_trap 2
.LBB4_594:                              ;   in Loop: Header=BB4_567 Depth=3
	s_or_b64 exec, exec, s[50:51]
	s_trap 2
	ds_read_b64 v[8:9], v0
	v_add_co_u32_e32 v10, vcc, v10, v30
	v_addc_co_u32_e32 v11, vcc, 0, v11, vcc
	s_waitcnt lgkmcnt(0)
	v_cmp_lt_u64_e32 vcc, v[8:9], v[10:11]
	s_and_saveexec_b64 s[50:51], vcc
	s_cbranch_execz .LBB4_603
; %bb.595:                              ;   in Loop: Header=BB4_567 Depth=3
	s_mov_b32 s62, 0
	s_mov_b64 s[52:53], 0
                                        ; implicit-def: $sgpr54_sgpr55
                                        ; implicit-def: $sgpr56_sgpr57
	s_branch .LBB4_597
.LBB4_596:                              ;   in Loop: Header=BB4_597 Depth=4
	s_or_b64 exec, exec, s[60:61]
	s_and_b64 vcc, exec, vcc
	s_or_b64 s[52:53], vcc, s[52:53]
	s_andn2_b64 vcc, s[54:55], exec
	s_and_b64 s[54:55], s[56:57], exec
	s_or_b64 s[54:55], vcc, s[54:55]
	s_andn2_b64 exec, exec, s[52:53]
	s_cbranch_execz .LBB4_601
.LBB4_597:                              ;   Parent Loop BB4_53 Depth=1
                                        ;     Parent Loop BB4_90 Depth=2
                                        ;       Parent Loop BB4_567 Depth=3
                                        ; =>      This Inner Loop Header: Depth=4
	s_add_i32 s62, s62, 1
	s_cmpk_lg_i32 s62, 0x2710
	s_cselect_b64 s[58:59], -1, 0
	s_and_b64 vcc, exec, s[58:59]
                                        ; implicit-def: $sgpr60_sgpr61
	s_cbranch_vccnz .LBB4_599
; %bb.598:                              ;   in Loop: Header=BB4_597 Depth=4
	s_trap 2
	ds_read_b64 v[8:9], v0
	s_andn2_b64 s[58:59], s[58:59], exec
	s_mov_b32 s62, 0
	s_mov_b64 s[60:61], -1
	s_waitcnt lgkmcnt(0)
	flat_load_dword v1, v[8:9] glc
	s_waitcnt vmcnt(0) lgkmcnt(0)
	buffer_invl2
	buffer_wbinvl1_vol
	v_cmp_eq_u32_e32 vcc, 0, v1
	s_and_b64 vcc, vcc, exec
	s_or_b64 s[58:59], s[58:59], vcc
.LBB4_599:                              ;   in Loop: Header=BB4_597 Depth=4
	s_andn2_b64 s[56:57], s[56:57], exec
	s_and_b64 s[60:61], s[60:61], exec
	s_mov_b64 vcc, -1
	s_or_b64 s[56:57], s[56:57], s[60:61]
	s_and_saveexec_b64 s[60:61], s[58:59]
	s_cbranch_execz .LBB4_596
; %bb.600:                              ;   in Loop: Header=BB4_597 Depth=4
	s_sleep 1
	s_trap 2
	ds_read_b64 v[8:9], v0
	s_andn2_b64 s[56:57], s[56:57], exec
	s_waitcnt lgkmcnt(0)
	v_cmp_ge_u64_e32 vcc, v[8:9], v[10:11]
	s_orn2_b64 vcc, vcc, exec
	s_branch .LBB4_596
.LBB4_601:                              ;   in Loop: Header=BB4_567 Depth=3
	s_or_b64 exec, exec, s[52:53]
	s_and_saveexec_b64 vcc, s[54:55]
	s_xor_b64 vcc, exec, vcc
	s_cbranch_execz .LBB4_603
; %bb.602:                              ;   in Loop: Header=BB4_567 Depth=3
	ds_write_b32 v0, v31
	s_trap 2
.LBB4_603:                              ;   in Loop: Header=BB4_567 Depth=3
	s_or_b64 exec, exec, s[50:51]
	;;#ASMSTART
	s_wakeup
	;;#ASMEND
.LBB4_604:                              ;   in Loop: Header=BB4_567 Depth=3
	s_or_b64 exec, exec, s[48:49]
.LBB4_605:                              ;   in Loop: Header=BB4_567 Depth=3
	s_andn2_saveexec_b64 vcc, s[46:47]
	s_cbranch_execz .LBB4_607
; %bb.606:                              ;   in Loop: Header=BB4_567 Depth=3
	s_waitcnt vmcnt(0) lgkmcnt(0)
	buffer_wbinvl1_vol
	s_barrier
.LBB4_607:                              ;   in Loop: Header=BB4_567 Depth=3
	s_or_b64 exec, exec, vcc
.LBB4_608:                              ;   in Loop: Header=BB4_567 Depth=3
	s_or_b64 exec, exec, s[22:23]
	s_trap 2
	ds_read_b32 v1, v0
	v_sub_u32_e32 v2, v32, v37
	v_min_i32_e32 v33, v33, v2
	v_cmp_lt_i32_e32 vcc, 0, v33
	s_waitcnt lgkmcnt(0)
	v_readfirstlane_b32 s22, v1
	s_cmp_eq_u32 s22, 0
	s_cselect_b64 s[22:23], -1, 0
	v_and_b32_e32 v1, 16, v55
	s_and_b64 s[22:23], vcc, s[22:23]
	v_cmp_ne_u32_e32 vcc, 0, v1
	s_and_b64 vcc, vcc, s[22:23]
	s_and_saveexec_b64 s[22:23], vcc
	s_cbranch_execz .LBB4_610
; %bb.609:                              ;   in Loop: Header=BB4_567 Depth=3
	s_waitcnt vmcnt(0)
	buffer_wbinvl1_vol
.LBB4_610:                              ;   in Loop: Header=BB4_567 Depth=3
	s_or_b64 exec, exec, s[22:23]
	v_and_b32_e32 v1, 32, v55
	v_cmp_ne_u32_e32 vcc, 0, v1
	s_and_saveexec_b64 s[22:23], vcc
	s_cbranch_execz .LBB4_566
; %bb.611:                              ;   in Loop: Header=BB4_567 Depth=3
	v_add_co_u32_e32 v16, vcc, 2, v16
	v_addc_co_u32_e32 v17, vcc, 0, v17, vcc
	flat_store_dwordx2 v[18:19], v[16:17]
	s_branch .LBB4_566
.LBB4_612:                              ;   in Loop: Header=BB4_53 Depth=1
	s_or_b64 exec, exec, s[38:39]
	v_accvgpr_read_b32 v35, a5
.LBB4_613:                              ;   in Loop: Header=BB4_53 Depth=1
	s_or_b64 exec, exec, s[36:37]
.LBB4_614:                              ;   in Loop: Header=BB4_53 Depth=1
	s_or_b64 exec, exec, s[34:35]
	s_add_i32 s22, s26, 1
	s_cmp_eq_u32 s26, s67
	s_cbranch_scc1 .LBB4_616
; %bb.615:                              ;   in Loop: Header=BB4_53 Depth=1
	s_mov_b32 s26, s22
	s_branch .LBB4_53
.LBB4_616:
	v_and_b32_e32 v0, 0x800, v55
	v_cmp_eq_u32_e32 vcc, 0, v0
	s_and_saveexec_b64 s[4:5], vcc
	s_cbranch_execz .LBB4_651
; %bb.617:
	v_and_b32_e32 v0, 48, v55
	v_cmp_ne_u32_e32 vcc, 0, v0
	s_and_saveexec_b64 s[6:7], vcc
	s_cbranch_execz .LBB4_619
; %bb.618:
	v_accvgpr_read_b32 v0, a10
	v_accvgpr_read_b32 v1, a11
	flat_store_dwordx2 v[0:1], v[16:17] offset:104
.LBB4_619:
	s_or_b64 exec, exec, s[6:7]
	s_movk_i32 s6, 0x88
	v_and_b32_e32 v0, 0x88, v55
	v_cmp_eq_u32_e32 vcc, s6, v0
	s_and_saveexec_b64 s[6:7], vcc
	s_cbranch_execz .LBB4_631
; %bb.620:
	v_add_u32_e32 v0, 6, v16
	v_and_b32_e32 v0, 7, v0
	v_mad_u64_u32 v[0:1], s[10:11], v0, 24, v[4:5]
	v_add_co_u32_e32 v2, vcc, 8, v0
	v_addc_co_u32_e32 v3, vcc, 0, v1, vcc
	s_mov_b64 s[10:11], 0
	v_mov_b32_e32 v0, 0
	s_movk_i32 s26, 0x270e
                                        ; implicit-def: $sgpr12_sgpr13
	s_branch .LBB4_625
.LBB4_621:                              ;   in Loop: Header=BB4_625 Depth=1
	s_or_b64 exec, exec, s[22:23]
	v_mov_b32_e32 v1, 0
	s_orn2_b64 s[20:21], s[20:21], exec
.LBB4_622:                              ;   in Loop: Header=BB4_625 Depth=1
	s_or_b64 exec, exec, s[18:19]
	s_and_b64 s[18:19], s[20:21], exec
	v_mov_b32_e32 v0, v1
.LBB4_623:                              ;   in Loop: Header=BB4_625 Depth=1
	s_or_b64 exec, exec, s[16:17]
	s_xor_b64 s[16:17], s[18:19], -1
	s_andn2_b64 s[12:13], s[12:13], exec
	s_and_b64 s[16:17], s[16:17], exec
	s_or_b64 s[12:13], s[12:13], s[16:17]
.LBB4_624:                              ;   in Loop: Header=BB4_625 Depth=1
	s_or_b64 exec, exec, s[14:15]
	s_and_b64 s[14:15], exec, s[12:13]
	s_or_b64 s[10:11], s[14:15], s[10:11]
	s_andn2_b64 exec, exec, s[10:11]
	s_cbranch_execz .LBB4_630
.LBB4_625:                              ; =>This Inner Loop Header: Depth=1
	flat_load_dwordx2 v[4:5], v[2:3] glc
	s_waitcnt vmcnt(0)
	s_or_b64 s[12:13], s[12:13], exec
	s_waitcnt lgkmcnt(0)
	v_cmp_ne_u64_e32 vcc, -1, v[4:5]
	s_and_saveexec_b64 s[14:15], vcc
	s_cbranch_execz .LBB4_624
; %bb.626:                              ;   in Loop: Header=BB4_625 Depth=1
	v_and_b32_e32 v1, 64, v55
	v_cmp_eq_u32_e32 vcc, 0, v1
	s_mov_b64 s[18:19], 0
	s_and_saveexec_b64 s[16:17], vcc
	s_cbranch_execz .LBB4_623
; %bb.627:                              ;   in Loop: Header=BB4_625 Depth=1
	v_add_u32_e32 v1, 1, v0
	v_cmp_lt_i32_e32 vcc, s26, v0
	s_mov_b64 s[20:21], -1
	s_and_saveexec_b64 s[18:19], vcc
	s_cbranch_execz .LBB4_622
; %bb.628:                              ;   in Loop: Header=BB4_625 Depth=1
	s_trap 2
	ds_read_b64 v[0:1], v0
	s_waitcnt lgkmcnt(0)
	flat_load_dword v0, v[0:1] glc
	s_waitcnt vmcnt(0) lgkmcnt(0)
	buffer_invl2
	buffer_wbinvl1_vol
	v_cmp_ne_u32_e32 vcc, 0, v0
	s_and_saveexec_b64 s[22:23], vcc
	s_cbranch_execz .LBB4_621
; %bb.629:                              ;   in Loop: Header=BB4_625 Depth=1
	v_or_b32_e32 v55, 64, v55
	s_xor_b64 s[20:21], exec, -1
	ds_write_b32 v0, v0
	s_trap 2
	s_branch .LBB4_621
.LBB4_630:
	s_or_b64 exec, exec, s[10:11]
.LBB4_631:
	s_or_b64 exec, exec, s[6:7]
	v_and_b32_e32 v0, 0x2000, v55
	v_cmp_ne_u32_e32 vcc, 0, v0
	s_and_saveexec_b64 s[6:7], vcc
	s_cbranch_execz .LBB4_633
; %bb.632:
	s_trap 2
	ds_read_b64 v[0:1], v0
	v_accvgpr_read_b32 v2, a8
	v_accvgpr_read_b32 v3, a9
	s_waitcnt lgkmcnt(0)
	flat_store_dwordx2 v[2:3], v[0:1] offset:16
.LBB4_633:
	s_or_b64 exec, exec, s[6:7]
	v_accvgpr_read_b32 v0, a0
	v_cmp_ne_u32_e32 vcc, 64, v0
	s_and_b64 exec, exec, vcc
	s_cbranch_execz .LBB4_651
; %bb.634:
	v_accvgpr_read_b32 v0, a0
	v_accvgpr_read_b32 v1, a6
	v_cmp_ne_u32_sdwa s[6:7], v1, v0 src0_sel:WORD_0 src1_sel:DWORD
	s_and_saveexec_b64 s[10:11], s[6:7]
	s_xor_b64 s[6:7], exec, s[10:11]
	s_cbranch_execz .LBB4_649
; %bb.635:
	v_accvgpr_read_b32 v0, a1
	v_and_b32_e32 v0, 63, v0
	v_cmp_eq_u32_e32 vcc, 0, v0
	s_and_saveexec_b64 s[10:11], vcc
	s_cbranch_execz .LBB4_648
; %bb.636:
	s_mov_b64 s[14:15], exec
	v_mbcnt_lo_u32_b32 v0, s14, 0
	v_mbcnt_hi_u32_b32 v0, s15, v0
	v_cmp_eq_u32_e32 vcc, 0, v0
	s_waitcnt vmcnt(0) lgkmcnt(0)
	buffer_wbinvl1_vol
	s_and_saveexec_b64 s[12:13], vcc
	s_cbranch_execz .LBB4_638
; %bb.637:
	s_bcnt1_i32_b64 s14, s[14:15]
	v_mov_b32_e32 v0, s14
	v_mov_b32_e32 v1, 0
	ds_add_u64 v0, v[0:1]
	s_trap 2
.LBB4_638:
	s_or_b64 exec, exec, s[12:13]
	v_accvgpr_read_b32 v1, a0
	v_ashrrev_i32_e32 v0, 31, v1
	v_lshrrev_b32_e32 v0, 26, v0
	v_add_u32_e32 v0, v1, v0
	v_ashrrev_i32_e32 v0, 6, v0
	s_trap 2
	ds_read_b64 v[2:3], v0
	v_ashrrev_i32_e32 v1, 31, v0
	v_add_co_u32_e32 v0, vcc, v10, v0
	v_addc_co_u32_e32 v1, vcc, v11, v1, vcc
	s_waitcnt lgkmcnt(0)
	v_cmp_lt_u64_e32 vcc, v[2:3], v[0:1]
	s_and_saveexec_b64 s[12:13], vcc
	s_cbranch_execz .LBB4_647
; %bb.639:
	s_mov_b32 s28, 0
	s_mov_b64 s[14:15], 0
                                        ; implicit-def: $sgpr16_sgpr17
                                        ; implicit-def: $sgpr18_sgpr19
	s_branch .LBB4_641
.LBB4_640:                              ;   in Loop: Header=BB4_641 Depth=1
	s_or_b64 exec, exec, s[26:27]
	s_and_b64 s[20:21], exec, s[22:23]
	s_or_b64 s[14:15], s[20:21], s[14:15]
	s_andn2_b64 s[16:17], s[16:17], exec
	s_and_b64 s[20:21], s[18:19], exec
	s_or_b64 s[16:17], s[16:17], s[20:21]
	s_andn2_b64 exec, exec, s[14:15]
	s_cbranch_execz .LBB4_645
.LBB4_641:                              ; =>This Inner Loop Header: Depth=1
	s_add_i32 s28, s28, 1
	s_cmpk_lg_i32 s28, 0x2710
	s_cselect_b64 s[20:21], -1, 0
	s_and_b64 vcc, exec, s[20:21]
                                        ; implicit-def: $sgpr26_sgpr27
	s_cbranch_vccnz .LBB4_643
; %bb.642:                              ;   in Loop: Header=BB4_641 Depth=1
	s_trap 2
	ds_read_b64 v[2:3], v0
	s_andn2_b64 s[20:21], s[20:21], exec
	s_mov_b32 s28, 0
	s_mov_b64 s[26:27], -1
	s_waitcnt lgkmcnt(0)
	flat_load_dword v2, v[2:3] glc
	s_waitcnt vmcnt(0) lgkmcnt(0)
	buffer_invl2
	buffer_wbinvl1_vol
	v_cmp_eq_u32_e32 vcc, 0, v2
	s_and_b64 s[22:23], vcc, exec
	s_or_b64 s[20:21], s[20:21], s[22:23]
.LBB4_643:                              ;   in Loop: Header=BB4_641 Depth=1
	s_andn2_b64 s[18:19], s[18:19], exec
	s_and_b64 s[26:27], s[26:27], exec
	s_mov_b64 s[22:23], -1
	s_or_b64 s[18:19], s[18:19], s[26:27]
	s_and_saveexec_b64 s[26:27], s[20:21]
	s_cbranch_execz .LBB4_640
; %bb.644:                              ;   in Loop: Header=BB4_641 Depth=1
	s_sleep 1
	s_trap 2
	ds_read_b64 v[2:3], v0
	s_andn2_b64 s[18:19], s[18:19], exec
	s_waitcnt lgkmcnt(0)
	v_cmp_ge_u64_e32 vcc, v[2:3], v[0:1]
	s_orn2_b64 s[22:23], vcc, exec
	s_branch .LBB4_640
.LBB4_645:
	s_or_b64 exec, exec, s[14:15]
	s_and_saveexec_b64 s[14:15], s[16:17]
	s_xor_b64 s[14:15], exec, s[14:15]
	s_cbranch_execz .LBB4_647
; %bb.646:
	v_mov_b32_e32 v0, 1
	ds_write_b32 v0, v0
	s_trap 2
.LBB4_647:
	s_or_b64 exec, exec, s[12:13]
	;;#ASMSTART
	s_wakeup
	;;#ASMEND
.LBB4_648:
	s_or_b64 exec, exec, s[10:11]
.LBB4_649:
	s_andn2_saveexec_b64 s[6:7], s[6:7]
	s_cbranch_execz .LBB4_651
; %bb.650:
	s_waitcnt vmcnt(0) lgkmcnt(0)
	buffer_wbinvl1_vol
	s_barrier
.LBB4_651:
	s_or_b64 exec, exec, s[4:5]
.LBB4_652:
	s_andn2_saveexec_b64 s[26:27], s[24:25]
	s_cbranch_execz .LBB4_654
; %bb.653:
	s_getpc_b64 s[4:5]
	s_add_u32 s4, s4, __PRETTY_FUNCTION__._ZN10PrimitivesIa7FuncSumIaE12FanSymmetricILi1EELi0E11ProtoSimpleILi2ELi2ELi0ELi2ELi0ELi0EELi0ELb0ELi0ELi0ELi0EEC2EiiPKiS8_PKvPvmhhhP15ncclDevWorkCollP14ncclDevWorkP2pii@rel32@lo+4
	s_addc_u32 s5, s5, __PRETTY_FUNCTION__._ZN10PrimitivesIa7FuncSumIaE12FanSymmetricILi1EELi0E11ProtoSimpleILi2ELi2ELi0ELi2ELi0ELi0EELi0ELb0ELi0ELi0ELi0EEC2EiiPKiS8_PKvPvmhhhP15ncclDevWorkCollP14ncclDevWorkP2pii@rel32@hi+12
	v_mov_b32_e32 v0, s4
	v_mov_b32_e32 v1, s5
	s_getpc_b64 s[6:7]
	s_add_u32 s6, s6, __assert_fail@rel32@lo+4
	s_addc_u32 s7, s7, __assert_fail@rel32@hi+12
	s_swappc_b64 s[30:31], s[6:7]
	; divergent unreachable
.LBB4_654:
	s_or_b64 exec, exec, s[26:27]
	buffer_load_dword a45, off, s[0:3], s33 ; 4-byte Folded Reload
	buffer_load_dword a44, off, s[0:3], s33 offset:4 ; 4-byte Folded Reload
	buffer_load_dword a43, off, s[0:3], s33 offset:8 ; 4-byte Folded Reload
	;; [unrolled: 1-line block ×27, first 2 shown]
	v_readlane_b32 s30, v63, 43
	v_readlane_b32 s31, v63, 44
	;; [unrolled: 1-line block ×46, first 2 shown]
	s_or_saveexec_b64 s[6:7], -1
	buffer_load_dword v63, off, s[0:3], s33 offset:112 ; 4-byte Folded Reload
	s_mov_b64 exec, s[6:7]
	s_addk_i32 s32, 0xe000
	s_mov_b32 s33, s4
	s_waitcnt vmcnt(0) lgkmcnt(0)
	s_setpc_b64 s[30:31]
.Lfunc_end4:
	.size	_ZN12_GLOBAL__N_17runRingIa7FuncSumIaE11ProtoSimpleILi2ELi2ELi0ELi2ELi0ELi0EELi0ELi2ELi0EEEviiP15ncclDevWorkColl, .Lfunc_end4-_ZN12_GLOBAL__N_17runRingIa7FuncSumIaE11ProtoSimpleILi2ELi2ELi0ELi2ELi0ELi0EELi0ELi2ELi0EEEviiP15ncclDevWorkColl
                                        ; -- End function
	.section	.AMDGPU.csdata,"",@progbits
; Function info:
; codeLenInByte = 22992
; NumSgprs: 81
; NumVgprs: 64
; NumAgprs: 46
; TotalNumVgprs: 110
; ScratchSize: 192
; MemoryBound: 0
	.text
	.p2align	2                               ; -- Begin function _Z50ncclDevFunc_AlltoAllPivot_RING_SIMPLE_Sum_i8_0_0_2v
	.type	_Z50ncclDevFunc_AlltoAllPivot_RING_SIMPLE_Sum_i8_0_0_2v,@function
_Z50ncclDevFunc_AlltoAllPivot_RING_SIMPLE_Sum_i8_0_0_2v: ; @_Z50ncclDevFunc_AlltoAllPivot_RING_SIMPLE_Sum_i8_0_0_2v
; %bb.0:
	s_waitcnt vmcnt(0) expcnt(0) lgkmcnt(0)
	s_mov_b32 s4, s33
	s_mov_b32 s33, s32
	s_or_saveexec_b64 s[6:7], -1
	buffer_store_dword v43, off, s[0:3], s33 offset:16 ; 4-byte Folded Spill
	s_mov_b64 exec, s[6:7]
	v_writelane_b32 v43, s4, 53
	s_addk_i32 s32, 0x800
	buffer_store_dword v40, off, s[0:3], s33 offset:12 ; 4-byte Folded Spill
	buffer_store_dword v41, off, s[0:3], s33 offset:8 ; 4-byte Folded Spill
	;; [unrolled: 1-line block ×3, first 2 shown]
	buffer_store_dword v63, off, s[0:3], s33 ; 4-byte Folded Spill
	v_writelane_b32 v43, s34, 0
	v_writelane_b32 v43, s35, 1
	;; [unrolled: 1-line block ×53, first 2 shown]
	s_trap 2
	ds_read_b32 v0, v0
	v_mov_b32_e32 v40, v31
	s_mov_b32 s77, s12
	s_mov_b64 s[78:79], s[8:9]
	s_waitcnt lgkmcnt(0)
	v_cmp_gt_i32_e32 vcc, 1, v0
	s_cbranch_vccnz .LBB5_8
; %bb.1:
	s_mov_b32 s84, 0
	v_and_b32_e32 v41, 0x3ff, v40
	s_mov_b64 s[80:81], src_shared_base
	v_mov_b32_e32 v42, 6
	s_branch .LBB5_3
.LBB5_2:                                ;   in Loop: Header=BB5_3 Depth=1
	s_or_b64 exec, exec, s[82:83]
	s_trap 2
	ds_read_b32 v0, v0
	s_add_i32 s84, s84, 1
	s_waitcnt lgkmcnt(0)
	v_cmp_lt_i32_e32 vcc, s84, v0
	s_cbranch_vccz .LBB5_8
.LBB5_3:                                ; =>This Inner Loop Header: Depth=1
	s_trap 2
	ds_read_b32 v0, v0
	s_cmp_eq_u32 s84, 0
	s_cbranch_scc1 .LBB5_6
; %bb.4:                                ;   in Loop: Header=BB5_3 Depth=1
	s_trap 2
	s_waitcnt lgkmcnt(0)
	ds_read_b32 v1, v0
	s_waitcnt lgkmcnt(0)
	v_xor_b32_e32 v1, v1, v0
	v_and_b32_e32 v1, 0xff0000, v1
	v_cmp_eq_u32_e32 vcc, 0, v1
	s_cbranch_vccnz .LBB5_6
; %bb.5:                                ;   in Loop: Header=BB5_3 Depth=1
	s_barrier
	ds_read_b32 v0, v0
.LBB5_6:                                ;   in Loop: Header=BB5_3 Depth=1
	s_waitcnt lgkmcnt(0)
	v_lshlrev_b32_sdwa v1, v42, v0 dst_sel:DWORD dst_unused:UNUSED_PAD src0_sel:DWORD src1_sel:BYTE_2
	v_cmp_lt_u32_e32 vcc, v41, v1
	s_and_saveexec_b64 s[82:83], vcc
	s_cbranch_execz .LBB5_2
; %bb.7:                                ;   in Loop: Header=BB5_3 Depth=1
	s_mov_b64 s[8:9], s[78:79]
	s_mov_b32 s12, s77
	v_mov_b32_e32 v31, v40
	v_mov_b32_e32 v0, v41
	;; [unrolled: 1-line block ×3, first 2 shown]
	s_getpc_b64 s[4:5]
	s_add_u32 s4, s4, _ZN12_GLOBAL__N_17runRingIa7FuncSumIaE11ProtoSimpleILi2ELi2ELi0ELi2ELi0ELi0EELi0ELi2ELi0EEEviiP15ncclDevWorkColl@rel32@lo+4
	s_addc_u32 s5, s5, _ZN12_GLOBAL__N_17runRingIa7FuncSumIaE11ProtoSimpleILi2ELi2ELi0ELi2ELi0ELi0EELi0ELi2ELi0EEEviiP15ncclDevWorkColl@rel32@hi+12
	s_swappc_b64 s[30:31], s[4:5]
	s_branch .LBB5_2
.LBB5_8:
	buffer_load_dword v63, off, s[0:3], s33 ; 4-byte Folded Reload
	buffer_load_dword v42, off, s[0:3], s33 offset:4 ; 4-byte Folded Reload
	buffer_load_dword v41, off, s[0:3], s33 offset:8 ; 4-byte Folded Reload
	;; [unrolled: 1-line block ×3, first 2 shown]
	v_readlane_b32 s30, v43, 51
	v_readlane_b32 s31, v43, 52
	v_readlane_b32 s84, v43, 50
	v_readlane_b32 s83, v43, 49
	v_readlane_b32 s82, v43, 48
	v_readlane_b32 s81, v43, 47
	v_readlane_b32 s80, v43, 46
	v_readlane_b32 s79, v43, 45
	v_readlane_b32 s78, v43, 44
	v_readlane_b32 s77, v43, 43
	v_readlane_b32 s76, v43, 42
	v_readlane_b32 s75, v43, 41
	v_readlane_b32 s74, v43, 40
	v_readlane_b32 s73, v43, 39
	v_readlane_b32 s72, v43, 38
	v_readlane_b32 s71, v43, 37
	v_readlane_b32 s70, v43, 36
	v_readlane_b32 s69, v43, 35
	v_readlane_b32 s68, v43, 34
	v_readlane_b32 s67, v43, 33
	v_readlane_b32 s66, v43, 32
	v_readlane_b32 s65, v43, 31
	v_readlane_b32 s64, v43, 30
	v_readlane_b32 s63, v43, 29
	v_readlane_b32 s62, v43, 28
	v_readlane_b32 s61, v43, 27
	v_readlane_b32 s60, v43, 26
	v_readlane_b32 s59, v43, 25
	v_readlane_b32 s58, v43, 24
	v_readlane_b32 s57, v43, 23
	v_readlane_b32 s56, v43, 22
	v_readlane_b32 s55, v43, 21
	v_readlane_b32 s54, v43, 20
	v_readlane_b32 s53, v43, 19
	v_readlane_b32 s52, v43, 18
	v_readlane_b32 s51, v43, 17
	v_readlane_b32 s50, v43, 16
	v_readlane_b32 s49, v43, 15
	v_readlane_b32 s48, v43, 14
	v_readlane_b32 s47, v43, 13
	v_readlane_b32 s46, v43, 12
	v_readlane_b32 s45, v43, 11
	v_readlane_b32 s44, v43, 10
	v_readlane_b32 s43, v43, 9
	v_readlane_b32 s42, v43, 8
	v_readlane_b32 s41, v43, 7
	v_readlane_b32 s40, v43, 6
	v_readlane_b32 s39, v43, 5
	v_readlane_b32 s38, v43, 4
	v_readlane_b32 s37, v43, 3
	v_readlane_b32 s36, v43, 2
	v_readlane_b32 s35, v43, 1
	v_readlane_b32 s34, v43, 0
	v_readlane_b32 s4, v43, 53
	s_or_saveexec_b64 s[6:7], -1
	buffer_load_dword v43, off, s[0:3], s33 offset:16 ; 4-byte Folded Reload
	s_mov_b64 exec, s[6:7]
	s_addk_i32 s32, 0xf800
	s_mov_b32 s33, s4
	s_waitcnt vmcnt(0)
	s_setpc_b64 s[30:31]
.Lfunc_end5:
	.size	_Z50ncclDevFunc_AlltoAllPivot_RING_SIMPLE_Sum_i8_0_0_2v, .Lfunc_end5-_Z50ncclDevFunc_AlltoAllPivot_RING_SIMPLE_Sum_i8_0_0_2v
                                        ; -- End function
	.section	.AMDGPU.csdata,"",@progbits
; Function info:
; codeLenInByte = 1228
; NumSgprs: 89
; NumVgprs: 64
; NumAgprs: 46
; TotalNumVgprs: 110
; ScratchSize: 224
; MemoryBound: 0
	.text
	.p2align	2                               ; -- Begin function _ZN12_GLOBAL__N_17runRingIa7FuncSumIaE11ProtoSimpleILi2ELi2ELi0ELi4ELi0ELi0EELi0ELi4ELi0EEEviiP15ncclDevWorkColl
	.type	_ZN12_GLOBAL__N_17runRingIa7FuncSumIaE11ProtoSimpleILi2ELi2ELi0ELi4ELi0ELi0EELi0ELi4ELi0EEEviiP15ncclDevWorkColl,@function
_ZN12_GLOBAL__N_17runRingIa7FuncSumIaE11ProtoSimpleILi2ELi2ELi0ELi4ELi0ELi0EELi0ELi4ELi0EEEviiP15ncclDevWorkColl: ; @_ZN12_GLOBAL__N_17runRingIa7FuncSumIaE11ProtoSimpleILi2ELi2ELi0ELi4ELi0ELi0EELi0ELi4ELi0EEEviiP15ncclDevWorkColl
; %bb.0:
	s_waitcnt vmcnt(0) expcnt(0) lgkmcnt(0)
	s_mov_b32 s4, s33
	s_mov_b32 s33, s32
	s_or_saveexec_b64 s[6:7], -1
	buffer_store_dword v63, off, s[0:3], s33 offset:208 ; 4-byte Folded Spill
	s_mov_b64 exec, s[6:7]
	v_writelane_b32 v63, s4, 45
	v_accvgpr_write_b32 a9, v40             ;  Reload Reuse
	s_addk_i32 s32, 0x3800
	buffer_store_dword v41, off, s[0:3], s33 offset:176 ; 4-byte Folded Spill
	buffer_store_dword v42, off, s[0:3], s33 offset:172 ; 4-byte Folded Spill
	buffer_store_dword v43, off, s[0:3], s33 offset:168 ; 4-byte Folded Spill
	buffer_store_dword v44, off, s[0:3], s33 offset:164 ; 4-byte Folded Spill
	buffer_store_dword v45, off, s[0:3], s33 offset:160 ; 4-byte Folded Spill
	buffer_store_dword v46, off, s[0:3], s33 offset:156 ; 4-byte Folded Spill
	buffer_store_dword v47, off, s[0:3], s33 offset:152 ; 4-byte Folded Spill
	buffer_store_dword v56, off, s[0:3], s33 offset:148 ; 4-byte Folded Spill
	buffer_store_dword v57, off, s[0:3], s33 offset:144 ; 4-byte Folded Spill
	buffer_store_dword v58, off, s[0:3], s33 offset:140 ; 4-byte Folded Spill
	buffer_store_dword v59, off, s[0:3], s33 offset:136 ; 4-byte Folded Spill
	buffer_store_dword v60, off, s[0:3], s33 offset:132 ; 4-byte Folded Spill
	buffer_store_dword v61, off, s[0:3], s33 offset:128 ; 4-byte Folded Spill
	buffer_store_dword v62, off, s[0:3], s33 offset:124 ; 4-byte Folded Spill
	buffer_store_dword a32, off, s[0:3], s33 offset:120 ; 4-byte Folded Spill
	buffer_store_dword a33, off, s[0:3], s33 offset:116 ; 4-byte Folded Spill
	buffer_store_dword a34, off, s[0:3], s33 offset:112 ; 4-byte Folded Spill
	buffer_store_dword a35, off, s[0:3], s33 offset:108 ; 4-byte Folded Spill
	buffer_store_dword a36, off, s[0:3], s33 offset:104 ; 4-byte Folded Spill
	buffer_store_dword a37, off, s[0:3], s33 offset:100 ; 4-byte Folded Spill
	buffer_store_dword a38, off, s[0:3], s33 offset:96 ; 4-byte Folded Spill
	buffer_store_dword a39, off, s[0:3], s33 offset:92 ; 4-byte Folded Spill
	buffer_store_dword a40, off, s[0:3], s33 offset:88 ; 4-byte Folded Spill
	buffer_store_dword a41, off, s[0:3], s33 offset:84 ; 4-byte Folded Spill
	buffer_store_dword a42, off, s[0:3], s33 offset:80 ; 4-byte Folded Spill
	buffer_store_dword a43, off, s[0:3], s33 offset:76 ; 4-byte Folded Spill
	buffer_store_dword a44, off, s[0:3], s33 offset:72 ; 4-byte Folded Spill
	buffer_store_dword a45, off, s[0:3], s33 offset:68 ; 4-byte Folded Spill
	buffer_store_dword a46, off, s[0:3], s33 offset:64 ; 4-byte Folded Spill
	buffer_store_dword a47, off, s[0:3], s33 offset:60 ; 4-byte Folded Spill
	buffer_store_dword a48, off, s[0:3], s33 offset:56 ; 4-byte Folded Spill
	buffer_store_dword a49, off, s[0:3], s33 offset:52 ; 4-byte Folded Spill
	buffer_store_dword a50, off, s[0:3], s33 offset:48 ; 4-byte Folded Spill
	buffer_store_dword a51, off, s[0:3], s33 offset:44 ; 4-byte Folded Spill
	buffer_store_dword a52, off, s[0:3], s33 offset:40 ; 4-byte Folded Spill
	buffer_store_dword a53, off, s[0:3], s33 offset:36 ; 4-byte Folded Spill
	buffer_store_dword a54, off, s[0:3], s33 offset:32 ; 4-byte Folded Spill
	buffer_store_dword a55, off, s[0:3], s33 offset:28 ; 4-byte Folded Spill
	buffer_store_dword a56, off, s[0:3], s33 offset:24 ; 4-byte Folded Spill
	buffer_store_dword a57, off, s[0:3], s33 offset:20 ; 4-byte Folded Spill
	buffer_store_dword a58, off, s[0:3], s33 offset:16 ; 4-byte Folded Spill
	buffer_store_dword a59, off, s[0:3], s33 offset:12 ; 4-byte Folded Spill
	buffer_store_dword a60, off, s[0:3], s33 offset:8 ; 4-byte Folded Spill
	buffer_store_dword a62, off, s[0:3], s33 offset:4 ; 4-byte Folded Spill
	buffer_store_dword a63, off, s[0:3], s33 ; 4-byte Folded Spill
	v_writelane_b32 v63, s34, 0
	v_writelane_b32 v63, s35, 1
	;; [unrolled: 1-line block ×45, first 2 shown]
	v_mov_b32_e32 v49, v3
	v_mov_b32_e32 v48, v2
	s_trap 2
	flat_load_dword v8, v[48:49]
	flat_load_dwordx4 v[4:7], v[48:49] offset:72
	flat_load_dwordx2 v[2:3], v[48:49] offset:88
	v_accvgpr_write_b32 a0, v1
	ds_read_b32 v1, v0
	v_mov_b32_e32 v36, v0
                                        ; implicit-def: $vgpr34_vgpr35
	s_waitcnt lgkmcnt(0)
	v_readfirstlane_b32 s66, v1
	s_waitcnt vmcnt(0)
	v_and_b32_e32 v10, 0xff, v8
	v_bfe_u32 v11, v8, 8, 8
	v_cmp_ne_u32_e32 vcc, v1, v10
	s_and_saveexec_b64 s[4:5], vcc
	s_xor_b64 s[4:5], exec, s[4:5]
	s_cbranch_execz .LBB6_6
; %bb.1:
	flat_load_dwordx2 v[8:9], v[48:49] offset:96
	v_cmp_ne_u32_e32 vcc, v11, v1
                                        ; implicit-def: $vgpr34_vgpr35
	s_and_saveexec_b64 s[6:7], vcc
	s_xor_b64 s[6:7], exec, s[6:7]
	s_cbranch_execz .LBB6_3
; %bb.2:
	s_waitcnt vmcnt(0) lgkmcnt(0)
	v_lshrrev_b64 v[34:35], 12, v[8:9]
                                        ; implicit-def: $vgpr8_vgpr9
.LBB6_3:
	s_andn2_saveexec_b64 s[6:7], s[6:7]
	s_cbranch_execz .LBB6_5
; %bb.4:
	s_waitcnt vmcnt(0) lgkmcnt(0)
	v_lshrrev_b32_e32 v34, 1, v9
.LBB6_5:
	s_or_b64 exec, exec, s[6:7]
.LBB6_6:
	s_andn2_saveexec_b64 s[4:5], s[4:5]
	s_cbranch_execz .LBB6_8
; %bb.7:
	s_waitcnt vmcnt(0) lgkmcnt(0)
	flat_load_dwordx2 v[8:9], v[48:49] offset:96
	s_waitcnt vmcnt(0) lgkmcnt(0)
	v_lshlrev_b64 v[34:35], 9, v[8:9]
.LBB6_8:
	s_or_b64 exec, exec, s[4:5]
	s_waitcnt vmcnt(0) lgkmcnt(0)
	flat_load_ushort v8, v[48:49] offset:8
	v_sub_u32_e32 v12, v1, v10
	v_xad_u32 v1, v10, -1, v11
	v_ashrrev_i32_e32 v9, 31, v1
	v_mul_lo_u32 v7, v7, v1
	v_mad_u64_u32 v[4:5], s[6:7], v6, v1, v[4:5]
	v_sub_u32_e32 v1, 0, v12
	v_mul_lo_u32 v6, v6, v9
	v_max_i32_e32 v14, v12, v1
	v_add3_u32 v1, v7, v5, v6
	v_add_co_u32_e32 v0, vcc, v4, v2
	v_addc_co_u32_e32 v9, vcc, v1, v3, vcc
	v_sub_co_u32_e32 v1, vcc, 0, v0
	v_and_b32_e32 v3, v0, v1
	v_subb_co_u32_e32 v2, vcc, 0, v9, vcc
	v_and_b32_e32 v4, v9, v2
	v_cvt_f64_u32_e32 v[4:5], v4
	s_mov_b32 s4, 0
	v_ldexp_f64 v[4:5], v[4:5], 32
	s_mov_b32 s5, 0x40700000
	v_mov_b32_e32 v16, 0
	v_accvgpr_write_b32 a5, v0
	v_accvgpr_write_b32 a6, v9
                                        ; implicit-def: $vgpr28_vgpr29
	s_waitcnt vmcnt(0) lgkmcnt(0)
	v_lshrrev_b32_e32 v1, 1, v8
	v_lshlrev_b32_e32 v6, 1, v1
	v_sub_u32_e32 v2, 0, v6
	v_max_i32_e32 v8, v6, v2
	v_cvt_f32_u32_e32 v7, v8
	v_cvt_f64_u32_e32 v[2:3], v3
	v_add_f64 v[2:3], v[4:5], v[2:3]
	v_min_f64 v[2:3], v[2:3], s[4:5]
	v_rcp_iflag_f32_e32 v7, v7
	v_cvt_i32_f64_e32 v42, v[2:3]
	v_sub_u32_e32 v3, 0, v8
	v_ashrrev_i32_e32 v37, 31, v42
	v_mul_f32_e32 v2, 0x4f7ffffe, v7
	v_cvt_u32_f32_e32 v2, v2
	v_or_b32_e32 v17, v9, v37
	v_cmp_ne_u64_e32 vcc, 0, v[16:17]
	v_mul_lo_u32 v3, v3, v2
	v_mul_hi_u32 v3, v2, v3
	v_add_u32_e32 v2, v2, v3
	s_and_saveexec_b64 s[4:5], vcc
	s_xor_b64 s[6:7], exec, s[4:5]
	s_cbranch_execz .LBB6_10
; %bb.9:
	v_cvt_f32_u32_e32 v3, v42
	v_cvt_f32_u32_e32 v4, v37
	v_sub_co_u32_e32 v9, vcc, 0, v42
	v_subb_co_u32_e32 v13, vcc, 0, v37, vcc
	v_madmk_f32 v3, v4, 0x4f800000, v3
	v_rcp_f32_e32 v3, v3
	v_accvgpr_read_b32 v0, a5
	v_mul_f32_e32 v3, 0x5f7ffffc, v3
	v_mul_f32_e32 v4, 0x2f800000, v3
	v_trunc_f32_e32 v4, v4
	v_madmk_f32 v3, v4, 0xcf800000, v3
	v_cvt_u32_f32_e32 v7, v4
	v_cvt_u32_f32_e32 v3, v3
	v_mul_lo_u32 v15, v9, v7
	v_mul_lo_u32 v16, v13, v3
	v_mad_u64_u32 v[4:5], s[4:5], v9, v3, 0
	v_add3_u32 v5, v5, v15, v16
	v_mad_u64_u32 v[16:17], s[4:5], v3, v5, 0
	v_mul_hi_u32 v15, v3, v4
	v_add_co_u32_e32 v15, vcc, v15, v16
	v_addc_co_u32_e32 v18, vcc, 0, v17, vcc
	v_mad_u64_u32 v[16:17], s[4:5], v7, v5, 0
	v_mad_u64_u32 v[4:5], s[4:5], v7, v4, 0
	v_add_co_u32_e32 v4, vcc, v15, v4
	v_addc_co_u32_e32 v4, vcc, v18, v5, vcc
	v_addc_co_u32_e32 v5, vcc, 0, v17, vcc
	v_add_co_u32_e32 v4, vcc, v4, v16
	v_addc_co_u32_e32 v5, vcc, 0, v5, vcc
	v_add_co_u32_e32 v3, vcc, v3, v4
	v_addc_co_u32_e32 v7, vcc, v7, v5, vcc
	v_mul_lo_u32 v15, v9, v7
	v_mul_lo_u32 v13, v13, v3
	v_mad_u64_u32 v[4:5], s[4:5], v9, v3, 0
	v_add3_u32 v5, v5, v15, v13
	v_mad_u64_u32 v[18:19], s[4:5], v7, v4, 0
	v_mad_u64_u32 v[20:21], s[4:5], v3, v5, 0
	v_mul_hi_u32 v4, v3, v4
	v_add_co_u32_e32 v4, vcc, v4, v20
	v_mad_u64_u32 v[16:17], s[4:5], v7, v5, 0
	v_addc_co_u32_e32 v5, vcc, 0, v21, vcc
	v_add_co_u32_e32 v4, vcc, v4, v18
	v_addc_co_u32_e32 v4, vcc, v5, v19, vcc
	v_addc_co_u32_e32 v5, vcc, 0, v17, vcc
	v_add_co_u32_e32 v4, vcc, v4, v16
	v_addc_co_u32_e32 v5, vcc, 0, v5, vcc
	v_add_co_u32_e32 v3, vcc, v3, v4
	v_addc_co_u32_e32 v7, vcc, v7, v5, vcc
	v_mad_u64_u32 v[4:5], s[4:5], v0, v7, 0
	v_mul_hi_u32 v9, v0, v3
	v_add_co_u32_e32 v9, vcc, v9, v4
	v_accvgpr_read_b32 v18, a6
	v_addc_co_u32_e32 v13, vcc, 0, v5, vcc
	v_mad_u64_u32 v[16:17], s[4:5], v18, v3, 0
	v_add_co_u32_e32 v3, vcc, v9, v16
	v_mad_u64_u32 v[4:5], s[4:5], v18, v7, 0
	v_addc_co_u32_e32 v3, vcc, v13, v17, vcc
	v_addc_co_u32_e32 v5, vcc, 0, v5, vcc
	v_add_co_u32_e32 v3, vcc, v3, v4
	v_addc_co_u32_e32 v7, vcc, 0, v5, vcc
	v_mul_lo_u32 v9, v37, v3
	v_mul_lo_u32 v13, v42, v7
	v_mad_u64_u32 v[4:5], s[4:5], v42, v3, 0
	v_add3_u32 v5, v5, v13, v9
	v_sub_u32_e32 v9, v18, v5
	v_sub_co_u32_e32 v4, vcc, v0, v4
	v_subb_co_u32_e64 v9, s[4:5], v9, v37, vcc
	v_sub_co_u32_e64 v13, s[4:5], v4, v42
	v_subbrev_co_u32_e64 v9, s[4:5], 0, v9, s[4:5]
	v_cmp_ge_u32_e64 s[4:5], v9, v37
	v_cndmask_b32_e64 v15, 0, -1, s[4:5]
	v_cmp_ge_u32_e64 s[4:5], v13, v42
	v_cndmask_b32_e64 v13, 0, -1, s[4:5]
	v_cmp_eq_u32_e64 s[4:5], v9, v37
	v_cndmask_b32_e64 v9, v15, v13, s[4:5]
	v_add_co_u32_e64 v13, s[4:5], 2, v3
	v_addc_co_u32_e64 v15, s[4:5], 0, v7, s[4:5]
	v_add_co_u32_e64 v16, s[4:5], 1, v3
	v_addc_co_u32_e64 v17, s[4:5], 0, v7, s[4:5]
	v_subb_co_u32_e32 v5, vcc, v18, v5, vcc
	v_cmp_ne_u32_e64 s[4:5], 0, v9
	v_cmp_ge_u32_e32 vcc, v5, v37
	v_cndmask_b32_e64 v9, v17, v15, s[4:5]
	v_cndmask_b32_e64 v15, 0, -1, vcc
	v_cmp_ge_u32_e32 vcc, v4, v42
	v_cndmask_b32_e64 v4, 0, -1, vcc
	v_cmp_eq_u32_e32 vcc, v5, v37
	v_cndmask_b32_e32 v4, v15, v4, vcc
	v_cmp_ne_u32_e32 vcc, 0, v4
	v_cndmask_b32_e64 v4, v16, v13, s[4:5]
	v_cndmask_b32_e32 v29, v7, v9, vcc
	v_cndmask_b32_e32 v28, v3, v4, vcc
.LBB6_10:
	s_or_saveexec_b64 s[4:5], s[6:7]
	v_mad_u64_u32 v[4:5], s[6:7], v14, v2, 0
	s_xor_b64 exec, exec, s[4:5]
	s_cbranch_execz .LBB6_12
; %bb.11:
	v_cvt_f32_u32_e32 v2, v42
	v_sub_u32_e32 v3, 0, v42
	v_accvgpr_read_b32 v0, a5
	v_mov_b32_e32 v29, 0
	v_rcp_iflag_f32_e32 v2, v2
	v_mul_f32_e32 v2, 0x4f7ffffe, v2
	v_cvt_u32_f32_e32 v2, v2
	v_mul_lo_u32 v3, v3, v2
	v_mul_hi_u32 v3, v2, v3
	v_add_u32_e32 v2, v2, v3
	v_mul_hi_u32 v2, v0, v2
	v_mul_lo_u32 v3, v2, v42
	v_sub_u32_e32 v3, v0, v3
	v_add_u32_e32 v4, 1, v2
	v_sub_u32_e32 v7, v3, v42
	v_cmp_ge_u32_e32 vcc, v3, v42
	v_cndmask_b32_e32 v3, v3, v7, vcc
	v_cndmask_b32_e32 v2, v2, v4, vcc
	v_add_u32_e32 v4, 1, v2
	v_cmp_ge_u32_e32 vcc, v3, v42
	v_cndmask_b32_e32 v28, v2, v4, vcc
.LBB6_12:
	s_or_b64 exec, exec, s[4:5]
	v_sub_u32_e32 v2, v11, v10
	v_add_u16_e32 v2, 1, v2
	v_lshrrev_b16_e32 v3, 15, v2
	v_add_u16_e32 v2, v2, v3
	v_ashrrev_i16_e32 v2, 1, v2
	v_bfe_i32 v30, v2, 0, 16
	v_ashrrev_i32_e32 v7, 31, v30
	v_or_b32_e32 v3, v29, v7
	v_mov_b32_e32 v2, 0
	v_cmp_ne_u64_e32 vcc, 0, v[2:3]
                                        ; implicit-def: $vgpr38_vgpr39
	s_and_saveexec_b64 s[4:5], vcc
	s_xor_b64 s[6:7], exec, s[4:5]
	s_cbranch_execz .LBB6_14
; %bb.13:
	v_mov_b32_e32 v2, v7
	v_mov_b32_e32 v3, v7
	v_add_co_u32_e32 v4, vcc, v30, v2
	v_addc_co_u32_e32 v7, vcc, v7, v3, vcc
	v_xor_b32_e32 v7, v7, v3
	v_xor_b32_e32 v4, v4, v2
	v_cvt_f32_u32_e32 v9, v4
	v_cvt_f32_u32_e32 v10, v7
	v_sub_co_u32_e32 v13, vcc, 0, v4
	v_subb_co_u32_e32 v15, vcc, 0, v7, vcc
	v_madmk_f32 v9, v10, 0x4f800000, v9
	v_rcp_f32_e32 v9, v9
	v_mul_f32_e32 v9, 0x5f7ffffc, v9
	v_mul_f32_e32 v10, 0x2f800000, v9
	v_trunc_f32_e32 v10, v10
	v_madmk_f32 v9, v10, 0xcf800000, v9
	v_cvt_u32_f32_e32 v9, v9
	v_cvt_u32_f32_e32 v18, v10
	v_mul_lo_u32 v16, v15, v9
	v_mad_u64_u32 v[10:11], s[4:5], v13, v9, 0
	v_mul_lo_u32 v17, v13, v18
	v_add3_u32 v11, v11, v17, v16
	v_mad_u64_u32 v[16:17], s[4:5], v9, v11, 0
	v_mul_hi_u32 v19, v9, v10
	v_add_co_u32_e32 v19, vcc, v19, v16
	v_addc_co_u32_e32 v20, vcc, 0, v17, vcc
	v_mad_u64_u32 v[16:17], s[4:5], v18, v11, 0
	v_mad_u64_u32 v[10:11], s[4:5], v18, v10, 0
	v_add_co_u32_e32 v10, vcc, v19, v10
	v_addc_co_u32_e32 v10, vcc, v20, v11, vcc
	v_addc_co_u32_e32 v11, vcc, 0, v17, vcc
	v_add_co_u32_e32 v10, vcc, v10, v16
	v_addc_co_u32_e32 v11, vcc, 0, v11, vcc
	v_add_co_u32_e32 v9, vcc, v9, v10
	v_addc_co_u32_e32 v22, vcc, v18, v11, vcc
	v_mul_lo_u32 v16, v13, v22
	v_mul_lo_u32 v15, v15, v9
	v_mad_u64_u32 v[10:11], s[4:5], v13, v9, 0
	v_add3_u32 v11, v11, v16, v15
	v_mad_u64_u32 v[18:19], s[4:5], v22, v10, 0
	v_mad_u64_u32 v[20:21], s[4:5], v9, v11, 0
	v_mul_hi_u32 v10, v9, v10
	v_add_co_u32_e32 v10, vcc, v10, v20
	v_mad_u64_u32 v[16:17], s[4:5], v22, v11, 0
	v_addc_co_u32_e32 v11, vcc, 0, v21, vcc
	v_add_co_u32_e32 v10, vcc, v10, v18
	v_addc_co_u32_e32 v10, vcc, v11, v19, vcc
	v_addc_co_u32_e32 v11, vcc, 0, v17, vcc
	v_add_co_u32_e32 v10, vcc, v10, v16
	v_addc_co_u32_e32 v11, vcc, 0, v11, vcc
	v_add_co_u32_e32 v9, vcc, v9, v10
	v_addc_co_u32_e32 v13, vcc, v22, v11, vcc
	v_ashrrev_i32_e32 v15, 31, v29
	v_add_co_u32_e32 v10, vcc, v28, v15
	v_addc_co_u32_e32 v11, vcc, v29, v15, vcc
	v_xor_b32_e32 v19, v10, v15
	v_xor_b32_e32 v18, v11, v15
	v_mad_u64_u32 v[10:11], s[4:5], v19, v13, 0
	v_mul_hi_u32 v16, v19, v9
	v_add_co_u32_e32 v20, vcc, v16, v10
	v_addc_co_u32_e32 v21, vcc, 0, v11, vcc
	v_mad_u64_u32 v[16:17], s[4:5], v18, v9, 0
	v_add_co_u32_e32 v9, vcc, v20, v16
	v_mad_u64_u32 v[10:11], s[4:5], v18, v13, 0
	v_addc_co_u32_e32 v9, vcc, v21, v17, vcc
	v_addc_co_u32_e32 v11, vcc, 0, v11, vcc
	v_add_co_u32_e32 v9, vcc, v9, v10
	v_addc_co_u32_e32 v13, vcc, 0, v11, vcc
	v_mul_lo_u32 v16, v7, v9
	v_mul_lo_u32 v17, v4, v13
	v_mad_u64_u32 v[10:11], s[4:5], v4, v9, 0
	v_add3_u32 v11, v11, v17, v16
	v_sub_u32_e32 v16, v18, v11
	v_sub_co_u32_e32 v10, vcc, v19, v10
	v_subb_co_u32_e64 v16, s[4:5], v16, v7, vcc
	v_sub_co_u32_e64 v17, s[4:5], v10, v4
	v_subbrev_co_u32_e64 v16, s[4:5], 0, v16, s[4:5]
	v_cmp_ge_u32_e64 s[4:5], v16, v7
	v_cndmask_b32_e64 v19, 0, -1, s[4:5]
	v_cmp_ge_u32_e64 s[4:5], v17, v4
	v_cndmask_b32_e64 v17, 0, -1, s[4:5]
	v_cmp_eq_u32_e64 s[4:5], v16, v7
	v_cndmask_b32_e64 v16, v19, v17, s[4:5]
	v_add_co_u32_e64 v17, s[4:5], 2, v9
	v_subb_co_u32_e32 v11, vcc, v18, v11, vcc
	v_addc_co_u32_e64 v19, s[4:5], 0, v13, s[4:5]
	v_cmp_ge_u32_e32 vcc, v11, v7
	v_add_co_u32_e64 v20, s[4:5], 1, v9
	v_cndmask_b32_e64 v18, 0, -1, vcc
	v_cmp_ge_u32_e32 vcc, v10, v4
	v_addc_co_u32_e64 v21, s[4:5], 0, v13, s[4:5]
	v_cndmask_b32_e64 v4, 0, -1, vcc
	v_cmp_eq_u32_e32 vcc, v11, v7
	v_cmp_ne_u32_e64 s[4:5], 0, v16
	v_cndmask_b32_e32 v4, v18, v4, vcc
	v_cmp_ne_u32_e32 vcc, 0, v4
	v_cndmask_b32_e64 v7, v20, v17, s[4:5]
	v_cndmask_b32_e64 v16, v21, v19, s[4:5]
	v_cndmask_b32_e32 v7, v9, v7, vcc
	v_xor_b32_e32 v2, v15, v2
	v_cndmask_b32_e32 v4, v13, v16, vcc
	v_xor_b32_e32 v3, v15, v3
	v_xor_b32_e32 v7, v7, v2
	;; [unrolled: 1-line block ×3, first 2 shown]
	v_sub_co_u32_e32 v38, vcc, v7, v2
	v_subb_co_u32_e32 v39, vcc, v4, v3, vcc
.LBB6_14:
	s_andn2_saveexec_b64 s[4:5], s[6:7]
	s_cbranch_execz .LBB6_16
; %bb.15:
	v_cvt_f32_u32_e32 v2, v30
	v_sub_u32_e32 v3, 0, v30
	v_mov_b32_e32 v39, 0
	v_rcp_iflag_f32_e32 v2, v2
	v_mul_f32_e32 v2, 0x4f7ffffe, v2
	v_cvt_u32_f32_e32 v2, v2
	v_mul_lo_u32 v3, v3, v2
	v_mul_hi_u32 v3, v2, v3
	v_add_u32_e32 v2, v2, v3
	v_mul_hi_u32 v2, v28, v2
	v_mul_lo_u32 v3, v2, v30
	v_sub_u32_e32 v3, v28, v3
	v_add_u32_e32 v4, 1, v2
	v_sub_u32_e32 v7, v3, v30
	v_cmp_ge_u32_e32 vcc, v3, v30
	v_cndmask_b32_e32 v3, v3, v7, vcc
	v_cndmask_b32_e32 v2, v2, v4, vcc
	v_add_u32_e32 v4, 1, v2
	v_cmp_ge_u32_e32 vcc, v3, v30
	v_cndmask_b32_e32 v38, v2, v4, vcc
.LBB6_16:
	s_or_b64 exec, exec, s[4:5]
	v_mul_lo_u32 v2, v5, v8
	v_sub_u32_e32 v4, v14, v2
	s_trap 2
	ds_read_b64 v[2:3], v0
	v_sub_u32_e32 v7, v4, v8
	v_cmp_ge_u32_e64 s[4:5], v4, v8
	v_cndmask_b32_e64 v4, v4, v7, s[4:5]
	v_accvgpr_read_b32 v0, a0
	s_waitcnt lgkmcnt(0)
	v_cmp_ne_u32_e32 vcc, -1, v2
	v_cndmask_b32_e64 v15, 0, 1, vcc
	v_cmp_ne_u32_e32 vcc, -1, v3
	v_addc_co_u32_e64 v3, s[10:11], 0, v15, vcc
	v_lshlrev_b32_e32 v2, 1, v3
	v_cmp_ge_u32_e64 s[6:7], v4, v8
	v_cmp_le_i32_e64 s[10:11], v2, v0
	s_and_saveexec_b64 s[14:15], s[10:11]
	s_xor_b64 s[28:29], exec, s[14:15]
	s_cbranch_execz .LBB6_654
; %bb.17:
	flat_load_dwordx4 v[8:11], v[48:49] offset:16
	s_trap 2
	s_load_dword s10, s[8:9], 0x0
	v_mov_b32_e32 v2, 0
	v_sub_u32_e32 v4, 0, v1
	v_add_u32_e32 v7, 1, v5
	v_cndmask_b32_e64 v5, v5, v7, s[4:5]
	s_waitcnt lgkmcnt(0)
	s_cmp_lt_u32 s12, s10
	s_cselect_b32 s10, 12, 18
	s_add_u32 s10, s8, s10
	s_addc_u32 s11, s9, 0
	global_load_ushort a7, v2, s[10:11]
	v_cvt_f32_u32_e32 v2, v1
	v_ashrrev_i32_e32 v29, 31, v12
	v_add_u32_e32 v7, 1, v5
	v_cndmask_b32_e64 v5, v5, v7, s[6:7]
	v_rcp_iflag_f32_e32 v2, v2
	ds_read_b32 v7, v0
	v_accvgpr_write_b32 a1, v31
	v_cmp_ge_i32_e64 s[4:5], v36, v15
	v_mul_f32_e32 v2, 0x4f7ffffe, v2
	v_cvt_u32_f32_e32 v2, v2
	s_waitcnt lgkmcnt(0)
	v_readfirstlane_b32 s12, v7
	v_mov_b32_e32 v55, 4
	v_mul_lo_u32 v4, v4, v2
	v_mul_hi_u32 v4, v2, v4
	v_add_u32_e32 v2, v2, v4
	v_bfe_i32 v4, v1, 30, 1
	v_xor_b32_e32 v4, v29, v4
	v_xor_b32_e32 v5, v5, v4
	v_sub_u32_e32 v31, v5, v4
	v_mul_lo_u32 v4, v31, v6
	v_sub_u32_e32 v24, v12, v4
	v_sub_u32_e32 v4, 0, v24
	s_and_saveexec_b64 s[6:7], s[4:5]
	s_cbranch_execz .LBB6_27
; %bb.18:
	v_cmp_le_u32_e64 s[4:5], v3, v36
                                        ; implicit-def: $vgpr55
	s_and_saveexec_b64 s[10:11], s[4:5]
	s_xor_b64 s[4:5], exec, s[10:11]
	s_cbranch_execz .LBB6_24
; %bb.19:
	v_cndmask_b32_e64 v5, 0, 1, vcc
	v_accvgpr_read_b32 v0, a0
	v_sub_u32_e32 v5, v0, v5
	v_cmp_ge_u32_e32 vcc, v36, v5
                                        ; implicit-def: $sgpr13
	s_and_saveexec_b64 s[10:11], vcc
	s_xor_b64 s[10:11], exec, s[10:11]
; %bb.20:
	s_mov_b32 s13, 16
                                        ; implicit-def: $vgpr3
; %bb.21:
	s_or_saveexec_b64 s[10:11], s[10:11]
	v_mov_b32_e32 v55, s13
	s_xor_b64 exec, exec, s[10:11]
; %bb.22:
	v_accvgpr_read_b32 v0, a0
	v_sub_u32_e32 v3, v0, v3
	v_cmp_ge_i32_e32 vcc, v36, v3
	v_cndmask_b32_e64 v3, 0, 1, vcc
	v_lshlrev_b32_e32 v55, 5, v3
; %bb.23:
	s_or_b64 exec, exec, s[10:11]
.LBB6_24:
	s_andn2_saveexec_b64 s[4:5], s[4:5]
; %bb.25:
	v_mov_b32_e32 v55, 8
; %bb.26:
	s_or_b64 exec, exec, s[4:5]
.LBB6_27:
	s_or_b64 exec, exec, s[6:7]
	v_and_b32_e32 v3, 36, v55
	v_max_i32_e32 v32, v24, v4
	v_cmp_ne_u32_e32 vcc, 0, v3
	v_mov_b32_e32 v6, -1
	s_and_saveexec_b64 s[4:5], vcc
	s_cbranch_execz .LBB6_29
; %bb.28:
	s_trap 2
	ds_read_b32 v6, v0
.LBB6_29:
	s_or_b64 exec, exec, s[4:5]
	v_mad_u64_u32 v[12:13], s[4:5], v14, v2, 0
	v_mad_u64_u32 v[20:21], s[4:5], v32, v2, 0
	v_and_b32_e32 v2, 24, v55
	v_cmp_ne_u32_e64 s[4:5], 0, v2
	s_and_saveexec_b64 s[6:7], s[4:5]
	s_cbranch_execz .LBB6_31
; %bb.30:
	s_trap 2
	s_waitcnt lgkmcnt(0)
	ds_read_b32 v6, v0
.LBB6_31:
	s_or_b64 exec, exec, s[6:7]
	v_pk_mov_b32 v[2:3], 0, 0
	v_accvgpr_write_b32 a11, v3
	s_waitcnt lgkmcnt(0)
	v_ashrrev_i32_e32 v7, 31, v6
	v_accvgpr_write_b32 a10, v2
	v_pk_mov_b32 v[22:23], v[2:3], v[2:3] op_sel:[0,1]
                                        ; implicit-def: $vgpr4_vgpr5
                                        ; kill: killed $vgpr4_vgpr5
                                        ; implicit-def: $agpr14
                                        ; implicit-def: $vgpr26_vgpr27
                                        ; implicit-def: $vgpr16_vgpr17
                                        ; implicit-def: $agpr16_agpr17
                                        ; implicit-def: $vgpr18_vgpr19
	s_and_saveexec_b64 s[4:5], vcc
	s_cbranch_execz .LBB6_41
; %bb.32:
	s_trap 2
	ds_read_b64 v[2:3], v0
	v_lshlrev_b64 v[4:5], 3, v[6:7]
	s_waitcnt lgkmcnt(0)
	v_add_co_u32_e32 v2, vcc, v2, v4
	v_addc_co_u32_e32 v3, vcc, v3, v5, vcc
	flat_load_dwordx2 v[2:3], v[2:3]
	s_waitcnt vmcnt(0) lgkmcnt(0)
	flat_load_dword v4, v[2:3] offset:640
	s_waitcnt vmcnt(0) lgkmcnt(0)
	v_cmp_eq_u32_e32 vcc, 1, v4
                                        ; implicit-def: $vgpr4_vgpr5
                                        ; kill: killed $vgpr4_vgpr5
	s_and_saveexec_b64 s[6:7], vcc
	s_cbranch_execz .LBB6_34
; %bb.33:
	flat_load_dwordx2 v[16:17], v[2:3] offset:648
	v_or_b32_e32 v55, 0x2000, v55
	s_waitcnt vmcnt(0) lgkmcnt(0)
	flat_load_dwordx2 v[4:5], v[16:17]
	s_trap 2
	s_waitcnt vmcnt(0) lgkmcnt(0)
	ds_write_b64 v0, v[4:5]
	flat_load_dwordx2 v[4:5], v[16:17] offset:8
	s_waitcnt vmcnt(0) lgkmcnt(0)
	ds_write_b64 v0, v[4:5]
	buffer_store_dword v16, off, s[0:3], s33 offset:200 ; 4-byte Folded Spill
	s_nop 0
	buffer_store_dword v17, off, s[0:3], s33 offset:204 ; 4-byte Folded Spill
	flat_load_dwordx2 v[4:5], v[16:17] offset:16
	s_waitcnt vmcnt(0) lgkmcnt(0)
	ds_write_b64 v0, v[4:5]
.LBB6_34:
	s_or_b64 exec, exec, s[6:7]
	flat_load_dwordx2 v[4:5], v[2:3] offset:608
	v_and_b32_e32 v12, 32, v55
                                        ; implicit-def: $vgpr18_vgpr19
	s_waitcnt vmcnt(0) lgkmcnt(0)
	v_add_co_u32_e32 v4, vcc, 3, v4
	v_addc_co_u32_e32 v17, vcc, 0, v5, vcc
	v_and_b32_e32 v16, -4, v4
	v_cmp_ne_u32_e32 vcc, 0, v12
	s_and_saveexec_b64 s[6:7], vcc
	s_cbranch_execz .LBB6_36
; %bb.35:
	flat_load_dwordx2 v[18:19], v[2:3] offset:560
	s_waitcnt vmcnt(0) lgkmcnt(0)
	flat_store_dwordx2 v[18:19], v[16:17]
.LBB6_36:
	s_or_b64 exec, exec, s[6:7]
	v_add_co_u32_e32 v4, vcc, 0x1f8, v2
	v_addc_co_u32_e32 v5, vcc, 0, v3, vcc
	v_accvgpr_write_b32 a11, v5
	v_accvgpr_write_b32 a10, v4
	v_and_b32_e32 v4, 4, v55
	v_cmp_ne_u32_e32 vcc, 0, v4
	v_pk_mov_b32 v[22:23], 0, 0
                                        ; implicit-def: $agpr14
                                        ; implicit-def: $vgpr26_vgpr27
                                        ; implicit-def: $agpr16_agpr17
	s_and_saveexec_b64 s[6:7], vcc
	s_cbranch_execz .LBB6_40
; %bb.37:
	v_and_b32_e32 v4, 0x800, v55
	v_cmp_eq_u32_e32 vcc, 0, v4
	s_and_saveexec_b64 s[10:11], vcc
	s_cbranch_execz .LBB6_39
; %bb.38:
	s_trap 2
	ds_write_b64 v0, a[10:11]
.LBB6_39:
	s_or_b64 exec, exec, s[10:11]
	flat_load_dwordx2 v[18:19], v[2:3] offset:552
	s_waitcnt vmcnt(0) lgkmcnt(0)
	flat_load_dwordx2 v[26:27], v[18:19] glc
	flat_load_dwordx2 v[22:23], v[2:3] offset:600
	flat_load_dword a14, v[2:3] offset:576
	flat_load_dwordx2 a[16:17], v[2:3] offset:520
	v_or_b32_e32 v2, 0x100, v55
	s_waitcnt vmcnt(0) lgkmcnt(0)
	v_cmp_eq_u64_e32 vcc, 0, v[22:23]
	v_cndmask_b32_e32 v55, v2, v55, vcc
.LBB6_40:
	s_or_b64 exec, exec, s[6:7]
.LBB6_41:
	s_or_b64 exec, exec, s[4:5]
	v_and_b32_e32 v3, 24, v55
	v_ashrrev_i32_e32 v2, 31, v24
	v_cmp_ne_u32_e32 vcc, 0, v3
                                        ; implicit-def: $vgpr52_vgpr53
	s_and_saveexec_b64 s[4:5], vcc
	s_cbranch_execz .LBB6_49
; %bb.42:
	s_trap 2
	ds_read_b64 v[4:5], v0
	v_lshlrev_b64 v[6:7], 3, v[6:7]
	v_or_b32_e32 v3, 0x100, v55
                                        ; implicit-def: $vgpr52_vgpr53
	s_waitcnt lgkmcnt(0)
	v_add_co_u32_e32 v4, vcc, v4, v6
	v_addc_co_u32_e32 v5, vcc, v5, v7, vcc
	flat_load_dwordx2 v[4:5], v[4:5]
	s_waitcnt vmcnt(0) lgkmcnt(0)
	v_accvgpr_write_b32 a11, v5
	flat_load_dwordx4 v[22:25], v[4:5] offset:96
	v_accvgpr_write_b32 a10, v4
	s_waitcnt vmcnt(0) lgkmcnt(0)
	v_cmp_eq_u64_e32 vcc, 0, v[22:23]
	v_cndmask_b32_e32 v55, v3, v55, vcc
	v_and_b32_e32 v3, 16, v55
	v_cmp_ne_u32_e32 vcc, 0, v3
	s_and_saveexec_b64 s[6:7], vcc
	s_cbranch_execz .LBB6_44
; %bb.43:
	v_accvgpr_read_b32 v4, a10
	v_accvgpr_read_b32 v5, a11
	flat_load_dwordx2 v[52:53], v[4:5] offset:120
	flat_load_dwordx2 v[18:19], v[4:5] offset:48
	;; [unrolled: 1-line block ×3, first 2 shown]
.LBB6_44:
	s_or_b64 exec, exec, s[6:7]
	v_add_co_u32_e32 v3, vcc, 3, v24
	v_addc_co_u32_e32 v17, vcc, 0, v25, vcc
	v_and_b32_e32 v16, -4, v3
	v_and_b32_e32 v3, 8, v55
	v_cmp_ne_u32_e32 vcc, 0, v3
	s_and_saveexec_b64 s[6:7], vcc
	s_cbranch_execz .LBB6_48
; %bb.45:
	v_and_b32_e32 v3, 0x800, v55
	v_cmp_eq_u32_e32 vcc, 0, v3
	s_and_saveexec_b64 s[10:11], vcc
	s_cbranch_execz .LBB6_47
; %bb.46:
	s_trap 2
	ds_write_b64 v0, a[10:11]
.LBB6_47:
	s_or_b64 exec, exec, s[10:11]
	v_accvgpr_read_b32 v4, a10
	v_accvgpr_read_b32 v5, a11
	s_waitcnt vmcnt(0) lgkmcnt(0)
	flat_load_dwordx2 v[18:19], v[4:5] offset:56
	s_waitcnt vmcnt(0) lgkmcnt(0)
	flat_load_dwordx2 v[26:27], v[18:19] glc
	flat_load_dword a14, v[4:5] offset:72
	flat_load_dwordx2 a[16:17], v[4:5] offset:16
.LBB6_48:
	s_or_b64 exec, exec, s[6:7]
.LBB6_49:
	s_or_b64 exec, exec, s[4:5]
	v_cmp_eq_u32_e64 s[4:5], 0, v36
	s_and_saveexec_b64 s[6:7], s[4:5]
	s_cbranch_execz .LBB6_51
; %bb.50:
	s_waitcnt vmcnt(0)
	v_mov_b32_e32 v4, v10
	v_mov_b32_e32 v5, v11
	;; [unrolled: 1-line block ×4, first 2 shown]
	ds_write2_b64 v0, v[4:5], v[6:7] offset1:1
	v_mov_b32_e32 v4, 0
	v_mov_b32_e32 v5, v4
	s_trap 2
	ds_write_b64 v0, v[4:5]
.LBB6_51:
	s_or_b64 exec, exec, s[6:7]
	v_accvgpr_read_b32 v0, a0
	s_cmp_lt_i32 s66, -1
	s_waitcnt vmcnt(0)
	v_pk_mov_b32 v[10:11], 0, 0
	v_cmp_ne_u32_e64 s[6:7], 64, v0
	s_cbranch_scc1 .LBB6_617
; %bb.52:
	v_mul_lo_u32 v3, v13, v1
	v_sub_u32_e32 v3, v14, v3
	v_sub_u32_e32 v4, v3, v1
	v_cmp_ge_u32_e32 vcc, v3, v1
	v_cndmask_b32_e32 v3, v3, v4, vcc
	v_sub_u32_e32 v4, v3, v1
	v_cmp_ge_u32_e32 vcc, v3, v1
	v_cndmask_b32_e32 v3, v3, v4, vcc
	v_xor_b32_e32 v3, v3, v29
	v_sub_u32_e32 v4, v3, v29
	v_mad_u64_u32 v[6:7], s[10:11], v31, v1, v[4:5]
	v_mad_u64_u32 v[4:5], s[10:11], v38, v30, 0
	v_sub_co_u32_e32 v8, vcc, v28, v4
	v_min_i32_e32 v4, v6, v8
	v_ashrrev_i32_e32 v7, 31, v6
	v_ashrrev_i32_e32 v5, 31, v4
	v_mad_u64_u32 v[4:5], s[10:11], v38, v6, v[4:5]
	v_mul_lo_u32 v12, v38, v7
	v_mul_lo_u32 v13, v39, v6
	v_add3_u32 v3, v13, v5, v12
	v_mul_lo_u32 v3, v3, v42
	v_mul_lo_u32 v5, v4, v37
	v_mad_u64_u32 v[10:11], s[10:11], v4, v42, 0
	v_cmp_lt_i32_e32 vcc, v6, v8
	v_add3_u32 v11, v11, v5, v3
	v_cndmask_b32_e64 v3, 0, 1, vcc
	v_add_co_u32_e32 v4, vcc, v38, v3
	v_addc_co_u32_e32 v3, vcc, 0, v39, vcc
	v_mul_lo_u32 v5, v3, v42
	v_mul_lo_u32 v3, v21, v1
	v_accvgpr_write_b32 a21, v11
	v_sub_u32_e32 v3, v32, v3
	v_accvgpr_write_b32 a20, v10
	v_add_u32_e32 v10, 1, v21
	v_cmp_ge_u32_e32 vcc, v3, v1
	v_sub_u32_e32 v11, v3, v1
	v_cndmask_b32_e32 v10, v21, v10, vcc
	v_cndmask_b32_e32 v3, v3, v11, vcc
	v_add_u32_e32 v11, 1, v10
	v_cmp_ge_u32_e32 vcc, v3, v1
	v_cndmask_b32_e32 v1, v10, v11, vcc
	v_xor_b32_e32 v1, v1, v2
	v_mul_lo_u32 v9, v4, v37
	v_mad_u64_u32 v[24:25], s[10:11], v4, v42, 0
	v_sub_u32_e32 v14, v1, v2
	v_add3_u32 v25, v25, v9, v5
	v_ashrrev_i32_e32 v1, 31, v14
	v_mul_lo_u32 v10, v25, v14
	v_mul_lo_u32 v1, v24, v1
	v_mul_hi_u32 v2, v24, v14
	v_mov_b32_e32 v20, 0
	s_lshr_b32 s10, s66, 31
	v_add3_u32 v2, v2, v1, v10
	s_add_i32 s10, s66, s10
	v_lshrrev_b32_e32 v2, 31, v2
	v_mov_b32_e32 v3, v20
	s_ashr_i32 s67, s10, 1
	v_mad_u64_u32 v[2:3], s[10:11], v24, v14, v[2:3]
	v_add3_u32 v3, v10, v3, v1
	v_ashrrev_i64 v[2:3], 1, v[2:3]
	v_accvgpr_write_b32 a29, v3
	v_accvgpr_write_b32 a28, v2
	v_lshrrev_b32_e32 v2, 31, v25
	v_mov_b32_e32 v3, v20
	v_mad_u64_u32 v[2:3], s[10:11], v4, v42, v[2:3]
	v_add3_u32 v3, v5, v3, v9
	v_ashrrev_i64 v[10:11], 1, v[2:3]
	v_ashrrev_i32_e32 v1, 31, v36
	v_sub_co_u32_e32 v2, vcc, 0, v10
	v_lshrrev_b32_e32 v1, 26, v1
	v_accvgpr_write_b32 a2, v48
	v_subb_co_u32_e32 v3, vcc, 0, v11, vcc
	v_add_u32_e32 v1, v36, v1
	v_accvgpr_write_b32 a3, v49
	v_mad_u64_u32 v[2:3], s[10:11], v4, v42, v[2:3]
	v_ashrrev_i32_e32 v48, 6, v1
	v_and_b32_e32 v1, 0xffffffc0, v1
	v_add3_u32 v3, v5, v3, v9
	v_sub_u32_e32 v9, v36, v1
	v_lshlrev_b32_e32 v1, 4, v9
	v_lshl_add_u32 v54, v48, 12, v1
	v_lshrrev_b32_e32 v50, 6, v0
	v_mov_b32_e32 v1, 0xfffff000
	v_lshl_add_u32 v1, v50, 12, v1
	s_movk_i32 s13, 0x1000
	v_ashrrev_i32_e32 v4, 31, v1
	v_add_co_u32_e32 v29, vcc, s13, v1
	v_addc_co_u32_e32 v62, vcc, 0, v4, vcc
	v_lshlrev_b32_e32 v4, 10, v50
	v_add_u32_e32 v1, 0xfffffc00, v4
	s_movk_i32 s13, 0x400
	v_accvgpr_write_b32 a32, v4
	v_ashrrev_i32_e32 v4, 31, v1
	v_add_co_u32_e32 v51, vcc, s13, v1
	v_addc_co_u32_e32 v57, vcc, 0, v4, vcc
	v_mov_b32_e32 v4, 0xfffff800
	v_lshl_add_u32 v4, v50, 11, v4
	s_movk_i32 s13, 0x800
	v_add_co_u32_e32 v47, vcc, s13, v4
	s_ashr_i32 s13, s12, 31
	s_lshr_b32 s13, s13, 25
	v_accvgpr_read_b32 v1, a1
	v_ashrrev_i32_e32 v5, 31, v4
	s_add_i32 s12, s12, s13
	v_and_b32_e32 v4, 63, v1
	s_abs_i32 s69, s66
	s_ashr_i32 s68, s12, 7
	v_cmp_eq_u32_e64 s[12:13], 0, v4
	v_cvt_f32_u32_e32 v4, s69
	v_addc_co_u32_e32 v56, vcc, 0, v5, vcc
	v_accvgpr_read_b32 v1, a7
	v_rcp_iflag_f32_e32 v4, v4
	v_cmp_eq_u32_e64 s[22:23], 0, v14
	v_and_b32_e32 v44, 0xffffffc0, v0
	v_cmp_ge_i32_e32 vcc, v36, v0
	v_mul_f32_e32 v4, 0x4f7ffffe, v4
	v_cvt_u32_f32_e32 v4, v4
	v_cmp_eq_u32_e64 s[16:17], 64, v0
	v_cmp_ne_u32_sdwa s[34:35], v1, v0 src0_sel:WORD_0 src1_sel:DWORD
	v_cndmask_b32_e64 v0, v2, v10, s[22:23]
	v_cndmask_b32_e64 v1, v3, v11, s[22:23]
	s_sub_i32 s22, 0, s69
	v_readfirstlane_b32 s23, v4
	s_mul_i32 s22, s22, s23
	v_cmp_gt_i32_e64 s[10:11], 1, v9
	v_accvgpr_write_b32 a15, v9
	v_cmp_lt_i32_e64 s[14:15], v9, v15
	s_mul_hi_u32 s22, s23, s22
	v_ashrrev_i32_e32 v9, 31, v8
	s_add_i32 s70, s23, s22
	v_cmp_lt_i64_e64 s[22:23], v[6:7], v[8:9]
	v_cndmask_b32_e64 v3, v9, v7, s[22:23]
	v_cndmask_b32_e64 v2, v8, v6, s[22:23]
	v_mad_u64_u32 v[2:3], s[22:23], v38, v6, v[2:3]
	v_add3_u32 v3, v13, v3, v12
	v_accvgpr_write_b32 a36, v0
	v_accvgpr_write_b32 a39, v1
	v_mul_lo_u32 v4, v2, v37
	v_mul_lo_u32 v3, v3, v42
	v_mad_u64_u32 v[0:1], s[22:23], v2, v42, 0
	v_add3_u32 v1, v1, v4, v3
	v_accvgpr_write_b32 a41, v1
	v_accvgpr_write_b32 a40, v0
	v_mov_b32_e32 v0, v54
	s_trap 2
	buffer_store_dword v0, off, s[0:3], s33 offset:180 ; 4-byte Folded Spill
	s_nop 0
	buffer_store_dword v1, off, s[0:3], s33 offset:184 ; 4-byte Folded Spill
	v_and_b32_e32 v30, 0x3ffffe00, v34
	v_mov_b32_e32 v31, v20
	v_accvgpr_write_b32 a22, v24
	s_waitcnt lgkmcnt(0)
	v_accvgpr_read_b32 v20, a14
	s_mov_b32 s31, 0
	v_accvgpr_write_b32 a23, v25
	v_ashrrev_i32_e32 v49, 31, v48
	v_ashrrev_i32_e32 v21, 31, v54
	;; [unrolled: 1-line block ×4, first 2 shown]
	v_accvgpr_write_b32 a12, v22
	v_accvgpr_read_b32 v25, a17
	v_accvgpr_write_b32 a18, v52
	v_accvgpr_write_b32 a24, v30
	;; [unrolled: 1-line block ×3, first 2 shown]
	v_cmp_eq_u64_e64 s[18:19], 0, v[52:53]
	v_cmp_ne_u64_e64 s[20:21], 0, v[52:53]
	v_mov_b32_e32 v38, 0
	v_pk_mov_b32 v[10:11], 0, 0
	s_xor_b64 s[36:37], vcc, -1
	s_movk_i32 s71, 0x270e
	v_mov_b32_e32 v58, 1
	s_movk_i32 s72, 0x108
	s_mov_b32 s30, s31
	v_accvgpr_write_b32 a13, v23
	v_accvgpr_read_b32 v24, a16
	v_accvgpr_write_b32 a19, v53
	v_accvgpr_write_b32 a25, v31
	;; [unrolled: 1-line block ×3, first 2 shown]
	v_mov_b32_e32 v1, v21
	v_accvgpr_write_b32 a27, v51
	v_accvgpr_write_b32 a33, v57
	;; [unrolled: 1-line block ×5, first 2 shown]
	buffer_store_dword v0, off, s[0:3], s33 offset:188 ; 4-byte Folded Spill
	s_nop 0
	buffer_store_dword v1, off, s[0:3], s33 offset:192 ; 4-byte Folded Spill
.LBB6_53:                               ; =>This Loop Header: Depth=1
                                        ;     Child Loop BB6_61 Depth 2
                                        ;     Child Loop BB6_68 Depth 2
	;; [unrolled: 1-line block ×5, first 2 shown]
                                        ;       Child Loop BB6_96 Depth 3
                                        ;         Child Loop BB6_104 Depth 4
                                        ;         Child Loop BB6_128 Depth 4
	;; [unrolled: 1-line block ×8, first 2 shown]
                                        ;       Child Loop BB6_216 Depth 3
                                        ;         Child Loop BB6_222 Depth 4
                                        ;         Child Loop BB6_246 Depth 4
                                        ;       Child Loop BB6_266 Depth 3
                                        ;         Child Loop BB6_270 Depth 4
                                        ;           Child Loop BB6_278 Depth 5
                                        ;           Child Loop BB6_306 Depth 5
	;; [unrolled: 1-line block ×8, first 2 shown]
                                        ;         Child Loop BB6_394 Depth 4
                                        ;           Child Loop BB6_400 Depth 5
                                        ;           Child Loop BB6_428 Depth 5
                                        ;       Child Loop BB6_449 Depth 3
                                        ;         Child Loop BB6_459 Depth 4
                                        ;         Child Loop BB6_481 Depth 4
                                        ;         Child Loop BB6_500 Depth 4
                                        ;         Child Loop BB6_520 Depth 4
                                        ;         Child Loop BB6_525 Depth 4
                                        ;         Child Loop BB6_533 Depth 4
                                        ;         Child Loop BB6_538 Depth 4
                                        ;         Child Loop BB6_549 Depth 4
                                        ;       Child Loop BB6_568 Depth 3
                                        ;         Child Loop BB6_574 Depth 4
                                        ;         Child Loop BB6_598 Depth 4
	s_sub_i32 s22, s66, s30
	s_ashr_i32 s23, s22, 31
	s_abs_i32 s22, s22
	s_mul_hi_u32 s24, s22, s70
	s_mul_i32 s24, s24, s69
	s_sub_i32 s22, s22, s24
	s_sub_i32 s24, s22, s69
	s_cmp_ge_u32 s22, s69
	s_cselect_b32 s22, s24, s22
	s_sub_i32 s24, s22, s69
	s_cmp_ge_u32 s22, s69
	s_trap 2
	ds_read_b64 v[4:5], v0
	s_cselect_b32 s22, s24, s22
	s_xor_b32 s22, s22, s23
	s_sub_i32 s22, s22, s23
	s_ashr_i32 s23, s22, 31
	s_lshl_b64 s[22:23], s[22:23], 2
	s_waitcnt lgkmcnt(0)
	v_add_co_u32_e32 v2, vcc, s22, v4
	v_mov_b32_e32 v3, s23
	v_addc_co_u32_e32 v3, vcc, v5, v3, vcc
	s_lshl_b64 s[22:23], s[30:31], 2
	flat_load_dword v2, v[2:3]
	v_add_co_u32_e32 v4, vcc, s22, v4
	v_mov_b32_e32 v3, s23
	v_addc_co_u32_e32 v5, vcc, v5, v3, vcc
	flat_load_dword v3, v[4:5]
	v_accvgpr_read_b32 v6, a20
	v_accvgpr_read_b32 v0, a5
	;; [unrolled: 1-line block ×6, first 2 shown]
	s_cmp_lg_u32 s30, 0
	s_waitcnt vmcnt(0) lgkmcnt(0)
	v_mul_lo_u32 v15, v1, v2
	v_ashrrev_i32_e32 v4, 31, v3
	v_cmp_eq_u32_e32 vcc, v2, v3
	v_mul_lo_u32 v12, v0, v4
	v_mul_lo_u32 v13, v1, v3
	v_mad_u64_u32 v[4:5], s[22:23], v0, v3, v[6:7]
	v_cndmask_b32_e32 v34, 0, v8, vcc
	v_add3_u32 v5, v13, v5, v12
	v_cndmask_b32_e32 v35, 0, v9, vcc
	v_add_co_u32_e64 v4, s[22:23], v4, v34
	v_accvgpr_write_b32 a38, v4
	v_addc_co_u32_e64 v4, s[22:23], v5, v35, s[22:23]
	v_accvgpr_write_b32 a42, v4
	v_ashrrev_i32_e32 v4, 31, v2
	v_mul_lo_u32 v14, v0, v4
	v_mad_u64_u32 v[4:5], s[22:23], v0, v2, v[6:7]
	v_add3_u32 v5, v15, v5, v14
	v_add_co_u32_e64 v0, s[22:23], v4, v34
	v_accvgpr_write_b32 a43, v0
	v_addc_co_u32_e64 v0, s[22:23], v5, v35, s[22:23]
	v_accvgpr_write_b32 a44, v0
	v_accvgpr_read_b32 v0, a22
	v_accvgpr_read_b32 v1, a23
	;; [unrolled: 1-line block ×3, first 2 shown]
	v_cndmask_b32_e32 v9, v1, v5, vcc
	v_accvgpr_read_b32 v4, a36
	v_cndmask_b32_e32 v8, v0, v4, vcc
	s_cselect_b64 s[22:23], -1, 0
	v_accvgpr_write_b32 a47, v9
	s_and_b64 vcc, exec, s[22:23]
	v_accvgpr_write_b32 a46, v8
	s_cbranch_vccnz .LBB6_85
; %bb.54:                               ;   in Loop: Header=BB6_53 Depth=1
	v_accvgpr_read_b32 v0, a2
	v_accvgpr_read_b32 v1, a3
	flat_load_dwordx4 v[40:43], v[0:1] offset:16
	s_mov_b64 s[22:23], -1
	s_waitcnt vmcnt(0) lgkmcnt(0)
	v_cmp_ne_u64_e32 vcc, v[42:43], v[40:41]
	s_and_saveexec_b64 s[38:39], vcc
	s_cbranch_execz .LBB6_84
; %bb.55:                               ;   in Loop: Header=BB6_53 Depth=1
	s_mov_b64 s[24:25], -1
	s_and_saveexec_b64 s[26:27], s[10:11]
; %bb.56:                               ;   in Loop: Header=BB6_53 Depth=1
	v_accvgpr_read_b32 v0, a38
	v_add_u32_e32 v4, v42, v0
	v_accvgpr_read_b32 v0, a43
	v_add_u32_e32 v5, v40, v0
	v_or_b32_e32 v4, v4, v5
	v_and_b32_e32 v4, 15, v4
	v_cmp_eq_u32_e32 vcc, 0, v4
	s_orn2_b64 s[22:23], vcc, exec
; %bb.57:                               ;   in Loop: Header=BB6_53 Depth=1
	s_or_b64 exec, exec, s[26:27]
	v_accvgpr_read_b32 v0, a5
	v_mad_u64_u32 v[4:5], s[26:27], v0, v3, 0
	s_xor_b64 s[22:23], s[22:23], -1
	v_add3_u32 v1, v5, v12, v13
	v_mad_u64_u32 v[60:61], s[26:27], v0, v2, 0
	v_cndmask_b32_e64 v2, 0, 1, s[22:23]
	v_accvgpr_write_b32 a51, v43
	v_accvgpr_write_b32 a54, v4
	;; [unrolled: 1-line block ×3, first 2 shown]
	v_add3_u32 v46, v61, v14, v15
	;;#ASMSTART
	;;#ASMEND
	v_cmp_ne_u32_e32 vcc, 0, v2
	v_accvgpr_write_b32 a50, v42
	v_accvgpr_write_b32 a49, v41
	;; [unrolled: 1-line block ×3, first 2 shown]
	s_cbranch_vccz .LBB6_59
; %bb.58:                               ;   in Loop: Header=BB6_53 Depth=1
	v_accvgpr_write_b32 a57, v9
	v_pk_mov_b32 v[6:7], 0, 0
	v_accvgpr_write_b32 a56, v8
	v_mov_b32_e32 v12, v36
	v_mov_b32_e32 v2, v48
	v_pk_mov_b32 v[32:33], v[48:49], v[48:49] op_sel:[0,1]
	s_and_saveexec_b64 s[22:23], s[24:25]
	s_cbranch_execnz .LBB6_74
	s_branch .LBB6_83
.LBB6_59:                               ;   in Loop: Header=BB6_53 Depth=1
	v_ashrrev_i32_e32 v2, 31, v9
	v_lshrrev_b32_e32 v2, 20, v2
	v_add_co_u32_e32 v2, vcc, v8, v2
	v_addc_co_u32_e32 v3, vcc, 0, v9, vcc
	v_ashrrev_i64 v[12:13], 12, v[2:3]
	v_sub_co_u32_e32 v42, vcc, v12, v48
	v_subb_co_u32_e32 v43, vcc, v13, v49, vcc
	v_mov_b32_e32 v28, v38
	v_cmp_lt_i64_e32 vcc, 0, v[42:43]
	s_and_saveexec_b64 s[40:41], vcc
	s_cbranch_execz .LBB6_63
; %bb.60:                               ;   in Loop: Header=BB6_53 Depth=1
	v_accvgpr_read_b32 v0, a40
	v_accvgpr_read_b32 v1, a41
	v_add_co_u32_e32 v4, vcc, v0, v34
	v_addc_co_u32_e32 v5, vcc, v1, v35, vcc
	v_accvgpr_read_b32 v0, a48
	v_accvgpr_read_b32 v2, a50
	v_accvgpr_read_b32 v3, a51
	v_add_co_u32_e32 v2, vcc, v4, v2
	v_addc_co_u32_e32 v3, vcc, v5, v3, vcc
	v_accvgpr_read_b32 v6, a54
	v_add_co_u32_e32 v2, vcc, v2, v6
	v_accvgpr_read_b32 v6, a53
	v_addc_co_u32_e32 v3, vcc, v3, v6, vcc
	v_accvgpr_read_b32 v1, a49
	v_add_co_u32_e32 v4, vcc, v4, v0
	v_addc_co_u32_e32 v5, vcc, v5, v1, vcc
	v_add_co_u32_e32 v14, vcc, v4, v60
	v_accvgpr_write_b32 a4, v34
	v_mov_b32_e32 v37, v35
	v_accvgpr_write_b32 a26, v60
	v_addc_co_u32_e32 v15, vcc, v5, v46, vcc
	s_mov_b64 s[42:43], 0
.LBB6_61:                               ;   Parent Loop BB6_53 Depth=1
                                        ; =>  This Inner Loop Header: Depth=2
	v_add_co_u32_e32 v4, vcc, v54, v2
	v_addc_co_u32_e32 v5, vcc, v21, v3, vcc
	global_load_dwordx4 v[38:41], v[4:5], off glc slc
	global_load_dwordx4 v[6:9], v[4:5], off offset:1024 glc slc
	global_load_dwordx4 v[32:35], v[4:5], off offset:2048 glc slc
	;; [unrolled: 1-line block ×3, first 2 shown]
	buffer_load_dword v0, off, s[0:3], s33 offset:188 ; 4-byte Folded Reload
	buffer_load_dword v1, off, s[0:3], s33 offset:192 ; 4-byte Folded Reload
	v_add_co_u32_e32 v4, vcc, v54, v14
	v_sub_co_u32_e64 v42, s[22:23], v42, v50
	v_add_co_u32_e64 v2, s[24:25], v2, v29
	v_add_co_u32_e64 v14, s[26:27], v14, v29
	s_waitcnt vmcnt(0)
	v_addc_co_u32_e32 v5, vcc, v1, v15, vcc
	global_store_dwordx4 v[4:5], v[38:41], off glc slc
	global_store_dwordx4 v[4:5], v[6:9], off offset:1024 glc slc
	global_store_dwordx4 v[4:5], v[32:35], off offset:2048 glc slc
	;; [unrolled: 1-line block ×3, first 2 shown]
	buffer_load_dword v0, off, s[0:3], s33 offset:188 ; 4-byte Folded Reload
	buffer_load_dword v1, off, s[0:3], s33 offset:192 ; 4-byte Folded Reload
	v_subbrev_co_u32_e64 v43, vcc, 0, v43, s[22:23]
	v_addc_co_u32_e64 v3, vcc, v3, v62, s[24:25]
	v_addc_co_u32_e64 v15, vcc, v15, v62, s[26:27]
	v_cmp_gt_i64_e32 vcc, 1, v[42:43]
	s_or_b64 s[42:43], vcc, s[42:43]
	s_waitcnt vmcnt(0)
	v_mov_b32_e32 v21, v1
	s_andn2_b64 exec, exec, s[42:43]
	s_cbranch_execnz .LBB6_61
; %bb.62:                               ;   in Loop: Header=BB6_53 Depth=1
	s_or_b64 exec, exec, s[42:43]
	v_accvgpr_read_b32 v23, a13
	v_accvgpr_read_b32 v8, a46
	;; [unrolled: 1-line block ×5, first 2 shown]
	v_mov_b32_e32 v58, 1
	v_accvgpr_read_b32 v9, a47
	v_mov_b32_e32 v35, v37
	v_accvgpr_read_b32 v34, a4
	v_accvgpr_read_b32 v60, a26
.LBB6_63:                               ;   in Loop: Header=BB6_53 Depth=1
	s_or_b64 exec, exec, s[40:41]
	v_lshlrev_b64 v[38:39], 12, v[12:13]
	v_cmp_ne_u64_e32 vcc, v[8:9], v[38:39]
	s_mov_b64 s[24:25], 0
	v_pk_mov_b32 v[6:7], 0, 0
                                        ; implicit-def: $agpr56_agpr57
                                        ; implicit-def: $vgpr12
                                        ; implicit-def: $vgpr2
                                        ; implicit-def: $vgpr32_vgpr33
	s_and_saveexec_b64 s[22:23], vcc
	s_cbranch_execz .LBB6_73
; %bb.64:                               ;   in Loop: Header=BB6_53 Depth=1
	v_sub_co_u32_e32 v2, vcc, v8, v38
	v_subb_co_u32_e32 v3, vcc, v9, v39, vcc
	v_ashrrev_i32_e32 v4, 31, v3
	v_lshrrev_b32_e32 v4, 22, v4
	v_add_co_u32_e32 v4, vcc, v2, v4
	v_addc_co_u32_e32 v5, vcc, 0, v3, vcc
	v_ashrrev_i64 v[12:13], 10, v[4:5]
	v_and_b32_e32 v4, 0xfffffc00, v4
	v_add_co_u32_e32 v14, vcc, v4, v38
	v_addc_co_u32_e32 v15, vcc, v5, v39, vcc
	v_sub_co_u32_e32 v0, vcc, v2, v4
	v_subb_co_u32_e32 v1, vcc, v3, v5, vcc
	v_accvgpr_write_b32 a57, v1
	v_accvgpr_write_b32 a56, v0
	v_cmp_lt_i64_e32 vcc, 15, v[0:1]
	s_and_saveexec_b64 s[24:25], vcc
	s_cbranch_execz .LBB6_66
; %bb.65:                               ;   in Loop: Header=BB6_53 Depth=1
	v_add_co_u32_e32 v12, vcc, 1, v12
	v_addc_co_u32_e32 v13, vcc, 0, v13, vcc
	v_and_b32_e32 v4, 15, v8
	v_accvgpr_read_b32 v0, a56
	v_accvgpr_read_b32 v1, a57
	v_sub_co_u32_e32 v6, vcc, v0, v4
	v_mov_b32_e32 v5, v28
	v_subbrev_co_u32_e32 v7, vcc, 0, v1, vcc
	v_add_co_u32_e32 v14, vcc, v6, v14
	v_accvgpr_write_b32 a57, v5
	v_addc_co_u32_e32 v15, vcc, v7, v15, vcc
	v_accvgpr_write_b32 a56, v4
.LBB6_66:                               ;   in Loop: Header=BB6_53 Depth=1
	s_or_b64 exec, exec, s[24:25]
	v_lshlrev_b32_e32 v4, 6, v42
	v_accvgpr_read_b32 v0, a15
	v_sub_u32_e32 v4, v0, v4
	v_ashrrev_i32_e32 v5, 31, v4
	v_lshrrev_b32_e32 v5, 26, v5
	v_add_u32_e32 v5, v4, v5
	v_ashrrev_i32_e32 v6, 6, v5
	v_and_b32_e32 v5, 0xffffffc0, v5
	v_sub_u32_e32 v37, v4, v5
	v_lshlrev_b32_e32 v4, 4, v37
	v_lshl_add_u32 v32, v6, 10, v4
	v_ashrrev_i32_e32 v33, 31, v32
	v_sub_co_u32_e32 v2, vcc, v2, v32
	v_subb_co_u32_e32 v3, vcc, v3, v33, vcc
	v_ashrrev_i32_e32 v4, 31, v6
	v_sub_co_u32_e32 v40, vcc, v12, v6
	v_subb_co_u32_e32 v41, vcc, v13, v4, vcc
	v_cmp_lt_i64_e32 vcc, 15, v[2:3]
	s_and_saveexec_b64 s[24:25], vcc
	s_cbranch_execz .LBB6_70
; %bb.67:                               ;   in Loop: Header=BB6_53 Depth=1
	v_accvgpr_read_b32 v6, a48
	v_accvgpr_read_b32 v8, a50
	;; [unrolled: 1-line block ×4, first 2 shown]
	v_add_co_u32_e32 v43, vcc, v8, v0
	v_accvgpr_read_b32 v0, a53
	v_addc_co_u32_e32 v42, vcc, v9, v0, vcc
	v_accvgpr_read_b32 v0, a20
	v_accvgpr_read_b32 v1, a21
	v_add_co_u32_e32 v4, vcc, v0, v34
	v_addc_co_u32_e32 v5, vcc, v1, v35, vcc
	v_add_co_u32_e32 v4, vcc, v4, v38
	v_addc_co_u32_e32 v5, vcc, v5, v39, vcc
	;; [unrolled: 2-line block ×3, first 2 shown]
	v_accvgpr_read_b32 v7, a49
	v_add_co_u32_e32 v32, vcc, v6, v60
	v_addc_co_u32_e32 v33, vcc, v7, v46, vcc
	s_mov_b64 s[26:27], 0
	v_accvgpr_read_b32 v0, a32
.LBB6_68:                               ;   Parent Loop BB6_53 Depth=1
                                        ; =>  This Inner Loop Header: Depth=2
	v_add_co_u32_e32 v4, vcc, v43, v12
	v_addc_co_u32_e32 v5, vcc, v42, v13, vcc
	global_load_dwordx4 v[6:9], v[4:5], off glc slc
	v_add_co_u32_e32 v4, vcc, v32, v12
	v_addc_co_u32_e32 v5, vcc, v33, v13, vcc
	v_sub_co_u32_e32 v2, vcc, v2, v0
	v_subbrev_co_u32_e32 v3, vcc, 0, v3, vcc
	v_sub_co_u32_e32 v40, vcc, v40, v50
	v_subbrev_co_u32_e32 v41, vcc, 0, v41, vcc
	v_add_co_u32_e32 v12, vcc, v12, v51
	v_addc_co_u32_e32 v13, vcc, v13, v57, vcc
	v_cmp_gt_i64_e32 vcc, 16, v[2:3]
	s_or_b64 s[26:27], vcc, s[26:27]
	s_waitcnt vmcnt(0)
	global_store_dwordx4 v[4:5], v[6:9], off glc slc
	s_andn2_b64 exec, exec, s[26:27]
	s_cbranch_execnz .LBB6_68
; %bb.69:                               ;   in Loop: Header=BB6_53 Depth=1
	s_or_b64 exec, exec, s[26:27]
	v_accvgpr_read_b32 v8, a46
	v_accvgpr_read_b32 v9, a47
.LBB6_70:                               ;   in Loop: Header=BB6_53 Depth=1
	s_or_b64 exec, exec, s[24:25]
	v_accvgpr_read_b32 v0, a56
	v_accvgpr_read_b32 v1, a57
	s_mov_b64 s[24:25], 0
	v_cmp_ne_u64_e32 vcc, 0, v[0:1]
	v_pk_mov_b32 v[6:7], 0, 0
                                        ; implicit-def: $vgpr12
                                        ; implicit-def: $vgpr2
                                        ; implicit-def: $vgpr32_vgpr33
	s_and_saveexec_b64 s[26:27], vcc
	s_cbranch_execz .LBB6_72
; %bb.71:                               ;   in Loop: Header=BB6_53 Depth=1
	v_cmp_lt_i64_e32 vcc, 0, v[40:41]
	v_cndmask_b32_e32 v2, 0, v50, vcc
	v_sub_u32_e32 v2, v2, v40
	v_lshl_add_u32 v12, v2, 6, v37
	v_ashrrev_i32_e32 v2, 31, v12
	v_lshrrev_b32_e32 v2, 26, v2
	v_add_u32_e32 v2, v12, v2
	v_ashrrev_i32_e32 v2, 6, v2
	v_ashrrev_i32_e32 v3, 31, v2
	s_mov_b64 s[24:25], exec
	v_pk_mov_b32 v[6:7], v[14:15], v[14:15] op_sel:[0,1]
	v_pk_mov_b32 v[32:33], v[2:3], v[2:3] op_sel:[0,1]
.LBB6_72:                               ;   in Loop: Header=BB6_53 Depth=1
	s_or_b64 exec, exec, s[26:27]
	s_and_b64 s[24:25], s[24:25], exec
.LBB6_73:                               ;   in Loop: Header=BB6_53 Depth=1
	s_or_b64 exec, exec, s[22:23]
	v_mov_b32_e32 v38, v28
	s_and_saveexec_b64 s[22:23], s[24:25]
	s_cbranch_execz .LBB6_83
.LBB6_74:                               ;   in Loop: Header=BB6_53 Depth=1
	v_accvgpr_read_b32 v0, a56
	v_accvgpr_read_b32 v1, a57
	v_ashrrev_i32_e32 v3, 31, v1
	v_lshrrev_b32_e32 v3, 21, v3
	v_add_co_u32_e32 v4, vcc, v0, v3
	v_addc_co_u32_e32 v5, vcc, 0, v1, vcc
	v_ashrrev_i64 v[4:5], 11, v[4:5]
	v_sub_co_u32_e32 v42, vcc, v4, v32
	v_subb_co_u32_e32 v43, vcc, v5, v33, vcc
	v_ashrrev_i32_e32 v3, 31, v12
	v_cmp_lt_i64_e32 vcc, 0, v[42:43]
	v_lshrrev_b32_e32 v3, 26, v3
	s_and_saveexec_b64 s[24:25], vcc
	s_cbranch_execz .LBB6_78
; %bb.75:                               ;   in Loop: Header=BB6_53 Depth=1
	v_accvgpr_write_b32 a60, v3
	v_add_u32_e32 v3, v12, v3
	v_and_b32_e32 v3, 0xffffffc0, v3
	v_sub_u32_e32 v3, v12, v3
	v_accvgpr_read_b32 v0, a20
	v_lshl_add_u32 v22, v2, 11, v3
	v_accvgpr_read_b32 v1, a21
	v_add_co_u32_e32 v2, vcc, v0, v34
	v_addc_co_u32_e32 v3, vcc, v1, v35, vcc
	v_add_co_u32_e32 v2, vcc, v2, v6
	v_accvgpr_write_b32 a59, v7
	v_accvgpr_write_b32 a58, v6
	v_addc_co_u32_e32 v3, vcc, v3, v7, vcc
	v_accvgpr_read_b32 v6, a48
	v_accvgpr_write_b32 a63, v5
	v_accvgpr_read_b32 v8, a50
	v_accvgpr_write_b32 a62, v4
	v_accvgpr_read_b32 v9, a51
	v_add_co_u32_e32 v4, vcc, v2, v8
	v_addc_co_u32_e32 v5, vcc, v3, v9, vcc
	v_accvgpr_read_b32 v0, a54
	v_accvgpr_write_b32 a8, v38
	v_add_co_u32_e32 v38, vcc, v4, v0
	v_accvgpr_read_b32 v0, a53
	v_addc_co_u32_e32 v39, vcc, v5, v0, vcc
	v_accvgpr_read_b32 v7, a49
	v_add_co_u32_e32 v2, vcc, v2, v6
	v_addc_co_u32_e32 v3, vcc, v3, v7, vcc
	v_add_co_u32_e32 v32, vcc, v2, v60
	v_accvgpr_write_b32 a55, v12
	v_ashrrev_i32_e32 v21, 31, v22
	v_accvgpr_write_b32 a4, v34
	v_accvgpr_write_b32 a45, v35
	;; [unrolled: 1-line block ×4, first 2 shown]
	v_addc_co_u32_e32 v33, vcc, v3, v46, vcc
	s_mov_b64 s[26:27], 0
.LBB6_76:                               ;   Parent Loop BB6_53 Depth=1
                                        ; =>  This Inner Loop Header: Depth=2
	v_add_co_u32_e32 v2, vcc, v22, v38
	v_addc_co_u32_e32 v3, vcc, v21, v39, vcc
	flat_load_ubyte v4, v[2:3] glc slc
	flat_load_ubyte v5, v[2:3] offset:64 glc slc
	flat_load_ubyte v6, v[2:3] offset:128 glc slc
	flat_load_ubyte v7, v[2:3] offset:192 glc slc
	flat_load_ubyte v8, v[2:3] offset:256 glc slc
	flat_load_ubyte v9, v[2:3] offset:320 glc slc
	flat_load_ubyte v28, v[2:3] offset:384 glc slc
	flat_load_ubyte v34, v[2:3] offset:448 glc slc
	flat_load_ubyte v35, v[2:3] offset:512 glc slc
	flat_load_ubyte v48, v[2:3] offset:576 glc slc
	flat_load_ubyte v49, v[2:3] offset:640 glc slc
	flat_load_ubyte v53, v[2:3] offset:704 glc slc
	flat_load_ubyte v44, v[2:3] offset:768 glc slc
	flat_load_ubyte v45, v[2:3] offset:832 glc slc
	flat_load_ubyte v58, v[2:3] offset:896 glc slc
	flat_load_ubyte v59, v[2:3] offset:960 glc slc
	flat_load_ubyte v13, v[2:3] offset:1024 glc slc
	flat_load_ubyte v14, v[2:3] offset:1088 glc slc
	flat_load_ubyte v15, v[2:3] offset:1152 glc slc
	flat_load_ubyte v12, v[2:3] offset:1216 glc slc
	flat_load_ubyte v60, v[2:3] offset:1280 glc slc
	flat_load_ubyte v61, v[2:3] offset:1344 glc slc
	flat_load_ubyte v37, v[2:3] offset:1408 glc slc
	flat_load_ubyte v46, v[2:3] offset:1472 glc slc
	flat_load_ubyte v41, v[2:3] offset:1536 glc slc
	flat_load_ubyte v40, v[2:3] offset:1600 glc slc
	flat_load_ubyte v0, v[2:3] offset:1664 glc slc
	flat_load_ubyte v1, v[2:3] offset:1728 glc slc
	flat_load_ubyte v23, v[2:3] offset:1792 glc slc
	flat_load_ubyte v52, v[2:3] offset:1856 glc slc
	flat_load_ubyte v54, v[2:3] offset:1920 glc slc
	s_waitcnt vmcnt(0) lgkmcnt(0)
	buffer_store_dword v54, off, s[0:3], s33 offset:196 ; 4-byte Folded Spill
	flat_load_ubyte v54, v[2:3] offset:1984 glc slc
	v_add_co_u32_e32 v2, vcc, v22, v32
	v_addc_co_u32_e32 v3, vcc, v21, v33, vcc
	flat_store_byte v[2:3], v4 glc slc
	flat_store_byte v[2:3], v5 offset:64 glc slc
	flat_store_byte v[2:3], v6 offset:128 glc slc
	;; [unrolled: 1-line block ×29, first 2 shown]
	buffer_load_dword v0, off, s[0:3], s33 offset:196 ; 4-byte Folded Reload
	v_sub_co_u32_e32 v42, vcc, v42, v50
	v_subbrev_co_u32_e32 v43, vcc, 0, v43, vcc
	v_add_co_u32_e32 v38, vcc, v38, v47
	v_addc_co_u32_e32 v39, vcc, v39, v56, vcc
	v_add_co_u32_e32 v32, vcc, v32, v47
	v_addc_co_u32_e32 v33, vcc, v33, v56, vcc
	v_cmp_gt_i64_e32 vcc, 1, v[42:43]
	s_or_b64 s[26:27], vcc, s[26:27]
	s_waitcnt vmcnt(0)
	flat_store_byte v[2:3], v0 offset:1920 glc slc
	s_waitcnt lgkmcnt(0)
	flat_store_byte v[2:3], v54 offset:1984 glc slc
	s_andn2_b64 exec, exec, s[26:27]
	s_cbranch_execnz .LBB6_76
; %bb.77:                               ;   in Loop: Header=BB6_53 Depth=1
	s_or_b64 exec, exec, s[26:27]
	buffer_load_dword v0, off, s[0:3], s33 offset:180 ; 4-byte Folded Reload
	buffer_load_dword v1, off, s[0:3], s33 offset:184 ; 4-byte Folded Reload
	v_accvgpr_read_b32 v23, a13
	v_accvgpr_read_b32 v53, a19
	;; [unrolled: 1-line block ×12, first 2 shown]
	v_mov_b32_e32 v58, 1
	v_accvgpr_read_b32 v35, a45
	v_accvgpr_read_b32 v34, a4
	;; [unrolled: 1-line block ×8, first 2 shown]
	s_waitcnt vmcnt(0)
	v_mov_b32_e32 v54, v0
	buffer_load_dword v0, off, s[0:3], s33 offset:188 ; 4-byte Folded Reload
	buffer_load_dword v1, off, s[0:3], s33 offset:192 ; 4-byte Folded Reload
	s_waitcnt vmcnt(0)
	v_mov_b32_e32 v21, v1
	v_accvgpr_read_b32 v0, a56
	v_accvgpr_read_b32 v1, a57
.LBB6_78:                               ;   in Loop: Header=BB6_53 Depth=1
	s_or_b64 exec, exec, s[24:25]
	v_lshlrev_b64 v[14:15], 11, v[4:5]
	v_cmp_ne_u64_e32 vcc, v[0:1], v[14:15]
	s_and_saveexec_b64 s[24:25], vcc
	s_cbranch_execz .LBB6_82
; %bb.79:                               ;   in Loop: Header=BB6_53 Depth=1
	v_add_u32_e32 v2, v12, v3
	v_and_b32_e32 v2, 0xffffffc0, v2
	v_sub_u32_e32 v2, v12, v2
	v_lshlrev_b32_e32 v3, 6, v42
	v_sub_u32_e32 v32, v2, v3
	v_ashrrev_i32_e32 v33, 31, v32
	v_add_co_u32_e32 v2, vcc, v14, v32
	v_addc_co_u32_e32 v3, vcc, v15, v33, vcc
	v_sub_co_u32_e32 v2, vcc, v0, v2
	v_subb_co_u32_e32 v3, vcc, v1, v3, vcc
	v_cmp_lt_i64_e32 vcc, 0, v[2:3]
	s_and_b64 exec, exec, vcc
	s_cbranch_execz .LBB6_82
; %bb.80:                               ;   in Loop: Header=BB6_53 Depth=1
	v_pk_mov_b32 v[40:41], v[6:7], v[6:7] op_sel:[0,1]
	v_accvgpr_read_b32 v6, a48
	v_accvgpr_read_b32 v8, a50
	;; [unrolled: 1-line block ×4, first 2 shown]
	v_add_co_u32_e32 v12, vcc, v8, v0
	v_accvgpr_read_b32 v0, a53
	v_addc_co_u32_e32 v13, vcc, v9, v0, vcc
	v_accvgpr_read_b32 v0, a20
	v_accvgpr_read_b32 v1, a21
	v_add_co_u32_e32 v4, vcc, v0, v34
	v_addc_co_u32_e32 v5, vcc, v1, v35, vcc
	v_add_co_u32_e32 v4, vcc, v4, v40
	v_addc_co_u32_e32 v5, vcc, v5, v41, vcc
	;; [unrolled: 2-line block ×4, first 2 shown]
	v_accvgpr_read_b32 v7, a49
	v_add_co_u32_e32 v6, vcc, v6, v60
	v_addc_co_u32_e32 v7, vcc, v7, v46, vcc
	s_mov_b64 s[26:27], 0
.LBB6_81:                               ;   Parent Loop BB6_53 Depth=1
                                        ; =>  This Inner Loop Header: Depth=2
	v_add_co_u32_e32 v4, vcc, v12, v8
	v_addc_co_u32_e32 v5, vcc, v13, v9, vcc
	flat_load_ubyte v14, v[4:5] glc slc
	v_add_co_u32_e32 v4, vcc, v6, v8
	v_addc_co_u32_e32 v5, vcc, v7, v9, vcc
	v_sub_co_u32_e32 v2, vcc, v2, v44
	v_subbrev_co_u32_e32 v3, vcc, 0, v3, vcc
	v_add_co_u32_e32 v8, vcc, v8, v44
	v_addc_co_u32_e32 v9, vcc, v9, v45, vcc
	v_cmp_gt_i64_e32 vcc, 1, v[2:3]
	s_or_b64 s[26:27], vcc, s[26:27]
	s_waitcnt vmcnt(0) lgkmcnt(0)
	flat_store_byte v[4:5], v14 glc slc
	s_andn2_b64 exec, exec, s[26:27]
	s_cbranch_execnz .LBB6_81
.LBB6_82:                               ;   in Loop: Header=BB6_53 Depth=1
	s_or_b64 exec, exec, s[24:25]
	v_accvgpr_read_b32 v8, a46
	v_accvgpr_read_b32 v9, a47
.LBB6_83:                               ;   in Loop: Header=BB6_53 Depth=1
	s_or_b64 exec, exec, s[22:23]
	s_xor_b64 s[22:23], exec, -1
.LBB6_84:                               ;   in Loop: Header=BB6_53 Depth=1
	s_or_b64 exec, exec, s[38:39]
.LBB6_85:                               ;   in Loop: Header=BB6_53 Depth=1
	s_mov_b64 s[24:25], exec
	s_and_b64 s[22:23], s[24:25], s[22:23]
	v_accvgpr_read_b32 v2, a0
	s_mov_b64 exec, s[22:23]
	s_cbranch_execz .LBB6_615
; %bb.86:                               ;   in Loop: Header=BB6_53 Depth=1
	v_cmp_lt_i64_e32 vcc, 0, v[8:9]
	s_and_saveexec_b64 s[26:27], vcc
	s_cbranch_execz .LBB6_614
; %bb.87:                               ;   in Loop: Header=BB6_53 Depth=1
	s_add_i32 s73, s30, -1
	s_cmp_gt_u32 s30, 1
	s_mov_b64 s[38:39], 0
	s_cselect_b64 s[40:41], -1, 0
	v_pk_mov_b32 v[0:1], 0, 0
	s_branch .LBB6_90
.LBB6_88:                               ;   in Loop: Header=BB6_90 Depth=2
	s_or_b64 exec, exec, s[44:45]
.LBB6_89:                               ;   in Loop: Header=BB6_90 Depth=2
	s_or_b64 exec, exec, s[42:43]
	s_waitcnt vmcnt(0)
	v_accvgpr_read_b32 v0, a48
	v_accvgpr_read_b32 v1, a49
	v_add_co_u32_e32 v0, vcc, v0, v30
	v_addc_co_u32_e32 v1, vcc, 0, v1, vcc
	v_cmp_ge_i64_e32 vcc, v[0:1], v[8:9]
	v_accvgpr_read_b32 v53, a19
	s_or_b64 s[38:39], vcc, s[38:39]
	v_accvgpr_read_b32 v52, a18
	s_andn2_b64 exec, exec, s[38:39]
	s_cbranch_execz .LBB6_613
.LBB6_90:                               ;   Parent Loop BB6_53 Depth=1
                                        ; =>  This Loop Header: Depth=2
                                        ;       Child Loop BB6_96 Depth 3
                                        ;         Child Loop BB6_104 Depth 4
                                        ;         Child Loop BB6_128 Depth 4
	;; [unrolled: 1-line block ×8, first 2 shown]
                                        ;       Child Loop BB6_216 Depth 3
                                        ;         Child Loop BB6_222 Depth 4
                                        ;         Child Loop BB6_246 Depth 4
                                        ;       Child Loop BB6_266 Depth 3
                                        ;         Child Loop BB6_270 Depth 4
                                        ;           Child Loop BB6_278 Depth 5
                                        ;           Child Loop BB6_306 Depth 5
                                        ;           Child Loop BB6_325 Depth 5
                                        ;           Child Loop BB6_345 Depth 5
                                        ;           Child Loop BB6_350 Depth 5
                                        ;           Child Loop BB6_358 Depth 5
                                        ;           Child Loop BB6_363 Depth 5
                                        ;           Child Loop BB6_374 Depth 5
                                        ;         Child Loop BB6_394 Depth 4
                                        ;           Child Loop BB6_400 Depth 5
                                        ;           Child Loop BB6_428 Depth 5
                                        ;       Child Loop BB6_449 Depth 3
                                        ;         Child Loop BB6_459 Depth 4
                                        ;         Child Loop BB6_481 Depth 4
	;; [unrolled: 1-line block ×8, first 2 shown]
                                        ;       Child Loop BB6_568 Depth 3
                                        ;         Child Loop BB6_574 Depth 4
                                        ;         Child Loop BB6_598 Depth 4
	v_sub_co_u32_e32 v2, vcc, v8, v0
	v_subb_co_u32_e32 v3, vcc, v9, v1, vcc
	v_cmp_lt_i64_e32 vcc, v[30:31], v[2:3]
	v_cndmask_b32_e32 v2, v2, v30, vcc
	v_max_i32_e32 v28, 0, v2
	v_add_u32_e32 v3, 31, v28
	v_lshrrev_b32_e32 v3, 1, v3
	v_accvgpr_write_b32 a49, v1
	v_and_b32_e32 v3, 0x3ffffff0, v3
	v_accvgpr_write_b32 a48, v0
	v_max_i32_e32 v0, s68, v3
	v_cmp_lt_i32_e32 vcc, 0, v2
	s_and_b64 s[42:43], s[36:37], vcc
	v_mov_b32_e32 v2, 0
	v_accvgpr_write_b32 a50, v0
	v_mov_b32_e32 v60, v0
	v_mov_b32_e32 v15, 0
	s_mov_b64 s[44:45], exec
	s_and_b64 s[22:23], s[44:45], s[42:43]
	v_accvgpr_write_b32 a45, v28
	s_mov_b64 exec, s[22:23]
	s_cbranch_execnz .LBB6_93
; %bb.91:                               ;   in Loop: Header=BB6_90 Depth=2
	s_or_b64 exec, exec, s[44:45]
	v_cmp_gt_i32_e32 vcc, 2, v2
	s_and_saveexec_b64 s[44:45], vcc
	s_cbranch_execnz .LBB6_213
.LBB6_92:                               ;   in Loop: Header=BB6_90 Depth=2
	s_or_b64 exec, exec, s[44:45]
	s_andn2_b64 vcc, exec, s[40:41]
	s_cbranch_vccz .LBB6_263
	s_branch .LBB6_446
.LBB6_93:                               ;   in Loop: Header=BB6_90 Depth=2
	s_mov_b32 s74, 1
	s_mov_b64 s[48:49], -1
	s_mov_b64 s[46:47], 0
	v_mov_b32_e32 v15, 0
	v_accvgpr_read_b32 v60, a50
	s_branch .LBB6_96
.LBB6_94:                               ;   in Loop: Header=BB6_96 Depth=3
	s_or_b64 exec, exec, vcc
	v_add_co_u32_e32 v16, vcc, 2, v16
	v_addc_co_u32_e32 v17, vcc, 0, v17, vcc
	flat_store_dwordx2 v[18:19], v[16:17]
.LBB6_95:                               ;   in Loop: Header=BB6_96 Depth=3
	s_or_b64 exec, exec, s[22:23]
	v_add_u32_e32 v15, v60, v15
	v_cmp_ge_i32_e32 vcc, v15, v28
	s_xor_b64 s[22:23], s[48:49], -1
	s_or_b64 s[22:23], s[22:23], vcc
	s_and_b64 s[22:23], exec, s[22:23]
	s_or_b64 s[46:47], s[22:23], s[46:47]
	s_mov_b64 s[48:49], 0
	v_mov_b32_e32 v2, s74
	s_mov_b32 s74, 2
	s_andn2_b64 exec, exec, s[46:47]
	s_cbranch_execz .LBB6_212
.LBB6_96:                               ;   Parent Loop BB6_53 Depth=1
                                        ;     Parent Loop BB6_90 Depth=2
                                        ; =>    This Loop Header: Depth=3
                                        ;         Child Loop BB6_104 Depth 4
                                        ;         Child Loop BB6_128 Depth 4
	;; [unrolled: 1-line block ×8, first 2 shown]
	s_and_saveexec_b64 s[22:23], s[4:5]
	s_cbranch_execz .LBB6_98
; %bb.97:                               ;   in Loop: Header=BB6_96 Depth=3
	s_trap 2
	ds_read_b64 v[2:3], v0
	v_accvgpr_read_b32 v0, a38
	v_ashrrev_i32_e32 v4, 31, v15
	v_mov_b32_e32 v39, v38
	s_waitcnt lgkmcnt(0)
	v_add_co_u32_e32 v2, vcc, v2, v0
	v_accvgpr_read_b32 v0, a42
	v_addc_co_u32_e32 v3, vcc, v3, v0, vcc
	s_waitcnt vmcnt(0)
	v_accvgpr_read_b32 v0, a48
	v_accvgpr_read_b32 v1, a49
	v_add_co_u32_e32 v2, vcc, v2, v0
	v_addc_co_u32_e32 v3, vcc, v3, v1, vcc
	v_add_co_u32_e32 v2, vcc, v2, v15
	v_addc_co_u32_e32 v3, vcc, v3, v4, vcc
	ds_write_b64 v0, v[2:3]
	ds_write_b64 v0, v[38:39]
.LBB6_98:                               ;   in Loop: Header=BB6_96 Depth=3
	s_or_b64 exec, exec, s[22:23]
	v_and_b32_e32 v2, 8, v55
	v_cmp_ne_u32_e32 vcc, 0, v2
	s_mov_b64 s[50:51], -1
	s_and_saveexec_b64 s[22:23], vcc
	s_cbranch_execz .LBB6_110
; %bb.99:                               ;   in Loop: Header=BB6_96 Depth=3
	v_add_co_u32_e32 v2, vcc, 8, v26
	v_addc_co_u32_e32 v3, vcc, 0, v27, vcc
	v_add_co_u32_e32 v12, vcc, 2, v16
	v_addc_co_u32_e32 v13, vcc, 0, v17, vcc
	v_cmp_lt_u64_e32 vcc, v[2:3], v[12:13]
	v_mov_b32_e32 v2, 1
	s_and_saveexec_b64 s[50:51], vcc
	s_cbranch_execz .LBB6_109
; %bb.100:                              ;   in Loop: Header=BB6_96 Depth=3
	s_mov_b64 s[52:53], 0
	v_mov_b32_e32 v2, 0
                                        ; implicit-def: $sgpr54_sgpr55
	s_branch .LBB6_104
.LBB6_101:                              ;   in Loop: Header=BB6_104 Depth=4
	s_or_b64 exec, exec, s[62:63]
	v_mov_b32_e32 v3, 0
	s_orn2_b64 s[60:61], s[60:61], exec
.LBB6_102:                              ;   in Loop: Header=BB6_104 Depth=4
	s_or_b64 exec, exec, s[58:59]
	s_andn2_b64 vcc, s[54:55], exec
	s_and_b64 s[54:55], s[60:61], exec
	s_or_b64 s[54:55], vcc, s[54:55]
	v_mov_b32_e32 v2, v3
.LBB6_103:                              ;   in Loop: Header=BB6_104 Depth=4
	s_or_b64 exec, exec, s[56:57]
	s_waitcnt vmcnt(0) lgkmcnt(0)
	v_add_co_u32_e32 v4, vcc, 8, v26
	v_addc_co_u32_e32 v5, vcc, 0, v27, vcc
	v_cmp_ge_u64_e32 vcc, v[4:5], v[12:13]
	s_xor_b64 s[56:57], s[54:55], -1
	s_or_b64 vcc, s[56:57], vcc
	s_and_b64 vcc, exec, vcc
	s_or_b64 s[52:53], vcc, s[52:53]
	s_andn2_b64 exec, exec, s[52:53]
	s_cbranch_execz .LBB6_108
.LBB6_104:                              ;   Parent Loop BB6_53 Depth=1
                                        ;     Parent Loop BB6_90 Depth=2
                                        ;       Parent Loop BB6_96 Depth=3
                                        ; =>      This Inner Loop Header: Depth=4
	s_sleep 1
	flat_load_dwordx2 v[26:27], v[18:19] glc
	v_and_b32_e32 v3, 64, v55
	v_cmp_eq_u32_e32 vcc, 0, v3
	s_andn2_b64 s[54:55], s[54:55], exec
	s_and_saveexec_b64 s[56:57], vcc
	s_cbranch_execz .LBB6_103
; %bb.105:                              ;   in Loop: Header=BB6_104 Depth=4
	v_add_u32_e32 v3, 1, v2
	v_cmp_lt_i32_e32 vcc, s71, v2
	s_mov_b64 s[60:61], -1
	s_and_saveexec_b64 s[58:59], vcc
	s_cbranch_execz .LBB6_102
; %bb.106:                              ;   in Loop: Header=BB6_104 Depth=4
	s_trap 2
	ds_read_b64 v[2:3], v0
	s_waitcnt vmcnt(0) lgkmcnt(0)
	flat_load_dword v2, v[2:3] glc
	s_waitcnt vmcnt(0) lgkmcnt(0)
	buffer_invl2
	buffer_wbinvl1_vol
	v_cmp_ne_u32_e32 vcc, 0, v2
	s_and_saveexec_b64 s[62:63], vcc
	s_cbranch_execz .LBB6_101
; %bb.107:                              ;   in Loop: Header=BB6_104 Depth=4
	v_or_b32_e32 v55, 64, v55
	s_xor_b64 s[60:61], exec, -1
	ds_write_b32 v0, v2
	s_trap 2
	s_branch .LBB6_101
.LBB6_108:                              ;   in Loop: Header=BB6_96 Depth=3
	s_or_b64 exec, exec, s[52:53]
	v_and_b32_e32 v2, 8, v55
.LBB6_109:                              ;   in Loop: Header=BB6_96 Depth=3
	s_or_b64 exec, exec, s[50:51]
	v_cmp_eq_u32_e32 vcc, 0, v2
	s_orn2_b64 s[50:51], vcc, exec
	;;#ASMSTART
	s_wakeup
	;;#ASMEND
.LBB6_110:                              ;   in Loop: Header=BB6_96 Depth=3
	s_or_b64 exec, exec, s[22:23]
	v_sub_u32_e32 v2, v28, v15
	s_xor_b64 s[22:23], s[50:51], -1
	v_min_i32_e32 v60, v60, v2
	s_and_saveexec_b64 s[50:51], s[22:23]
	s_cbranch_execz .LBB6_120
; %bb.111:                              ;   in Loop: Header=BB6_96 Depth=3
	v_and_b32_e32 v2, 0x100, v55
	v_cmp_ne_u32_e32 vcc, 0, v2
	v_and_b32_e32 v14, 7, v16
	s_mov_b64 s[22:23], -1
                                        ; implicit-def: $vgpr2_vgpr3
	s_and_saveexec_b64 s[52:53], vcc
	s_cbranch_execz .LBB6_115
; %bb.112:                              ;   in Loop: Header=BB6_96 Depth=3
	v_mad_u64_u32 v[12:13], s[22:23], v14, 24, v[22:23]
	flat_load_dword v2, v[12:13]
	v_ashrrev_i32_e32 v61, 31, v60
	flat_store_dwordx2 v[12:13], v[60:61] offset:8
	s_waitcnt vmcnt(0) lgkmcnt(0)
	v_cmp_ne_u32_e32 vcc, 1, v2
	v_cmp_eq_u32_e64 s[22:23], 1, v2
                                        ; implicit-def: $vgpr2_vgpr3
	s_and_saveexec_b64 s[54:55], s[22:23]
	s_cbranch_execz .LBB6_114
; %bb.113:                              ;   in Loop: Header=BB6_96 Depth=3
	flat_load_dword v2, v[12:13] offset:4 glc
	s_waitcnt vmcnt(0) lgkmcnt(0)
	v_ashrrev_i32_e32 v3, 31, v2
.LBB6_114:                              ;   in Loop: Header=BB6_96 Depth=3
	s_or_b64 exec, exec, s[54:55]
	s_orn2_b64 s[22:23], vcc, exec
.LBB6_115:                              ;   in Loop: Header=BB6_96 Depth=3
	s_or_b64 exec, exec, s[52:53]
	s_and_saveexec_b64 vcc, s[22:23]
; %bb.116:                              ;   in Loop: Header=BB6_96 Depth=3
	v_mad_i64_i32 v[2:3], s[22:23], v14, v20, 0
; %bb.117:                              ;   in Loop: Header=BB6_96 Depth=3
	s_or_b64 exec, exec, vcc
	v_add_co_u32_e32 v2, vcc, v24, v2
	v_addc_co_u32_e32 v3, vcc, v25, v3, vcc
	ds_write_b64 v0, v[2:3] offset:784
	v_and_b32_e32 v2, 0x2000, v55
	v_cmp_ne_u32_e32 vcc, 0, v2
	s_and_saveexec_b64 s[22:23], vcc
	s_cbranch_execz .LBB6_119
; %bb.118:                              ;   in Loop: Header=BB6_96 Depth=3
	ds_read_b64 v[2:3], v0 offset:584
	s_waitcnt lgkmcnt(0)
	v_add_co_u32_e32 v2, vcc, 1, v2
	v_addc_co_u32_e32 v3, vcc, 0, v3, vcc
	ds_write_b64 v0, v[2:3] offset:584
.LBB6_119:                              ;   in Loop: Header=BB6_96 Depth=3
	s_or_b64 exec, exec, s[22:23]
	v_add_co_u32_e32 v16, vcc, 2, v16
	v_addc_co_u32_e32 v17, vcc, 0, v17, vcc
.LBB6_120:                              ;   in Loop: Header=BB6_96 Depth=3
	s_or_b64 exec, exec, s[50:51]
	s_and_saveexec_b64 s[22:23], s[6:7]
	s_cbranch_execz .LBB6_139
; %bb.121:                              ;   in Loop: Header=BB6_96 Depth=3
	s_and_saveexec_b64 vcc, s[34:35]
	s_xor_b64 s[50:51], exec, vcc
	s_cbranch_execz .LBB6_136
; %bb.122:                              ;   in Loop: Header=BB6_96 Depth=3
	s_and_saveexec_b64 s[52:53], s[12:13]
	s_cbranch_execz .LBB6_135
; %bb.123:                              ;   in Loop: Header=BB6_96 Depth=3
	s_mov_b64 s[56:57], exec
	v_mbcnt_lo_u32_b32 v2, s56, 0
	v_mbcnt_hi_u32_b32 v2, s57, v2
	v_cmp_eq_u32_e32 vcc, 0, v2
	s_waitcnt vmcnt(0) lgkmcnt(0)
	buffer_wbinvl1_vol
	s_and_saveexec_b64 s[54:55], vcc
	s_cbranch_execz .LBB6_125
; %bb.124:                              ;   in Loop: Header=BB6_96 Depth=3
	s_bcnt1_i32_b64 vcc_lo, s[56:57]
	v_mov_b32_e32 v2, vcc_lo
	v_mov_b32_e32 v3, v38
	ds_add_u64 v0, v[2:3]
	s_trap 2
.LBB6_125:                              ;   in Loop: Header=BB6_96 Depth=3
	s_or_b64 exec, exec, s[54:55]
	s_trap 2
	ds_read_b64 v[2:3], v0
	v_add_co_u32_e32 v10, vcc, v10, v50
	v_addc_co_u32_e32 v11, vcc, 0, v11, vcc
	s_waitcnt lgkmcnt(0)
	v_cmp_lt_u64_e32 vcc, v[2:3], v[10:11]
	s_and_saveexec_b64 s[54:55], vcc
	s_cbranch_execz .LBB6_134
; %bb.126:                              ;   in Loop: Header=BB6_96 Depth=3
	s_mov_b32 s75, 0
	s_mov_b64 s[56:57], 0
                                        ; implicit-def: $sgpr58_sgpr59
                                        ; implicit-def: $sgpr60_sgpr61
	s_branch .LBB6_128
.LBB6_127:                              ;   in Loop: Header=BB6_128 Depth=4
	s_or_b64 exec, exec, s[64:65]
	s_and_b64 vcc, exec, vcc
	s_or_b64 s[56:57], vcc, s[56:57]
	s_andn2_b64 vcc, s[58:59], exec
	s_and_b64 s[58:59], s[60:61], exec
	s_or_b64 s[58:59], vcc, s[58:59]
	s_andn2_b64 exec, exec, s[56:57]
	s_cbranch_execz .LBB6_132
.LBB6_128:                              ;   Parent Loop BB6_53 Depth=1
                                        ;     Parent Loop BB6_90 Depth=2
                                        ;       Parent Loop BB6_96 Depth=3
                                        ; =>      This Inner Loop Header: Depth=4
	s_add_i32 s75, s75, 1
	s_cmpk_lg_i32 s75, 0x2710
	s_cselect_b64 s[62:63], -1, 0
	s_and_b64 vcc, exec, s[62:63]
                                        ; implicit-def: $sgpr64_sgpr65
	s_cbranch_vccnz .LBB6_130
; %bb.129:                              ;   in Loop: Header=BB6_128 Depth=4
	s_trap 2
	ds_read_b64 v[2:3], v0
	s_andn2_b64 s[62:63], s[62:63], exec
	s_mov_b32 s75, 0
	s_mov_b64 s[64:65], -1
	s_waitcnt lgkmcnt(0)
	flat_load_dword v2, v[2:3] glc
	s_waitcnt vmcnt(0) lgkmcnt(0)
	buffer_invl2
	buffer_wbinvl1_vol
	v_cmp_eq_u32_e32 vcc, 0, v2
	s_and_b64 vcc, vcc, exec
	s_or_b64 s[62:63], s[62:63], vcc
.LBB6_130:                              ;   in Loop: Header=BB6_128 Depth=4
	s_andn2_b64 s[60:61], s[60:61], exec
	s_and_b64 s[64:65], s[64:65], exec
	s_mov_b64 vcc, -1
	s_or_b64 s[60:61], s[60:61], s[64:65]
	s_and_saveexec_b64 s[64:65], s[62:63]
	s_cbranch_execz .LBB6_127
; %bb.131:                              ;   in Loop: Header=BB6_128 Depth=4
	s_sleep 1
	s_trap 2
	ds_read_b64 v[2:3], v0
	s_andn2_b64 s[60:61], s[60:61], exec
	s_waitcnt lgkmcnt(0)
	v_cmp_ge_u64_e32 vcc, v[2:3], v[10:11]
	s_orn2_b64 vcc, vcc, exec
	s_branch .LBB6_127
.LBB6_132:                              ;   in Loop: Header=BB6_96 Depth=3
	s_or_b64 exec, exec, s[56:57]
	s_and_saveexec_b64 vcc, s[58:59]
	s_xor_b64 vcc, exec, vcc
	s_cbranch_execz .LBB6_134
; %bb.133:                              ;   in Loop: Header=BB6_96 Depth=3
	ds_write_b32 v0, v58
	s_trap 2
.LBB6_134:                              ;   in Loop: Header=BB6_96 Depth=3
	s_or_b64 exec, exec, s[54:55]
	;;#ASMSTART
	s_wakeup
	;;#ASMEND
.LBB6_135:                              ;   in Loop: Header=BB6_96 Depth=3
	s_or_b64 exec, exec, s[52:53]
.LBB6_136:                              ;   in Loop: Header=BB6_96 Depth=3
	s_andn2_saveexec_b64 vcc, s[50:51]
	s_cbranch_execz .LBB6_138
; %bb.137:                              ;   in Loop: Header=BB6_96 Depth=3
	s_waitcnt vmcnt(0) lgkmcnt(0)
	buffer_wbinvl1_vol
	s_barrier
.LBB6_138:                              ;   in Loop: Header=BB6_96 Depth=3
	s_or_b64 exec, exec, vcc
.LBB6_139:                              ;   in Loop: Header=BB6_96 Depth=3
	s_or_b64 exec, exec, s[22:23]
	s_trap 2
	ds_read_b32 v2, v0
	v_and_b32_e32 v3, 0x4000, v55
	v_cmp_ne_u32_e32 vcc, 0, v3
	s_xor_b64 s[22:23], s[16:17], -1
	s_and_b64 vcc, s[22:23], vcc
	s_and_saveexec_b64 s[22:23], vcc
	s_cbranch_execz .LBB6_158
; %bb.140:                              ;   in Loop: Header=BB6_96 Depth=3
	s_and_saveexec_b64 vcc, s[34:35]
	s_xor_b64 s[50:51], exec, vcc
	s_cbranch_execz .LBB6_155
; %bb.141:                              ;   in Loop: Header=BB6_96 Depth=3
	s_and_saveexec_b64 s[52:53], s[12:13]
	s_cbranch_execz .LBB6_154
; %bb.142:                              ;   in Loop: Header=BB6_96 Depth=3
	s_mov_b64 s[56:57], exec
	v_mbcnt_lo_u32_b32 v3, s56, 0
	v_mbcnt_hi_u32_b32 v3, s57, v3
	v_cmp_eq_u32_e32 vcc, 0, v3
	s_waitcnt vmcnt(0) lgkmcnt(0)
	buffer_wbinvl1_vol
	s_and_saveexec_b64 s[54:55], vcc
	s_cbranch_execz .LBB6_144
; %bb.143:                              ;   in Loop: Header=BB6_96 Depth=3
	s_bcnt1_i32_b64 vcc_lo, s[56:57]
	v_mov_b32_e32 v4, vcc_lo
	v_mov_b32_e32 v5, v38
	ds_add_u64 v0, v[4:5]
	s_trap 2
.LBB6_144:                              ;   in Loop: Header=BB6_96 Depth=3
	s_or_b64 exec, exec, s[54:55]
	s_trap 2
	ds_read_b64 v[4:5], v0
	v_add_co_u32_e32 v10, vcc, v10, v50
	v_addc_co_u32_e32 v11, vcc, 0, v11, vcc
	s_waitcnt lgkmcnt(0)
	v_cmp_lt_u64_e32 vcc, v[4:5], v[10:11]
	s_and_saveexec_b64 s[54:55], vcc
	s_cbranch_execz .LBB6_153
; %bb.145:                              ;   in Loop: Header=BB6_96 Depth=3
	s_mov_b32 s75, 0
	s_mov_b64 s[56:57], 0
                                        ; implicit-def: $sgpr58_sgpr59
                                        ; implicit-def: $sgpr60_sgpr61
	s_branch .LBB6_147
.LBB6_146:                              ;   in Loop: Header=BB6_147 Depth=4
	s_or_b64 exec, exec, s[64:65]
	s_and_b64 vcc, exec, vcc
	s_or_b64 s[56:57], vcc, s[56:57]
	s_andn2_b64 vcc, s[58:59], exec
	s_and_b64 s[58:59], s[60:61], exec
	s_or_b64 s[58:59], vcc, s[58:59]
	s_andn2_b64 exec, exec, s[56:57]
	s_cbranch_execz .LBB6_151
.LBB6_147:                              ;   Parent Loop BB6_53 Depth=1
                                        ;     Parent Loop BB6_90 Depth=2
                                        ;       Parent Loop BB6_96 Depth=3
                                        ; =>      This Inner Loop Header: Depth=4
	s_add_i32 s75, s75, 1
	s_cmpk_lg_i32 s75, 0x2710
	s_cselect_b64 s[62:63], -1, 0
	s_and_b64 vcc, exec, s[62:63]
                                        ; implicit-def: $sgpr64_sgpr65
	s_cbranch_vccnz .LBB6_149
; %bb.148:                              ;   in Loop: Header=BB6_147 Depth=4
	s_trap 2
	ds_read_b64 v[4:5], v0
	s_andn2_b64 s[62:63], s[62:63], exec
	s_mov_b32 s75, 0
	s_mov_b64 s[64:65], -1
	s_waitcnt lgkmcnt(0)
	flat_load_dword v3, v[4:5] glc
	s_waitcnt vmcnt(0) lgkmcnt(0)
	buffer_invl2
	buffer_wbinvl1_vol
	v_cmp_eq_u32_e32 vcc, 0, v3
	s_and_b64 vcc, vcc, exec
	s_or_b64 s[62:63], s[62:63], vcc
.LBB6_149:                              ;   in Loop: Header=BB6_147 Depth=4
	s_andn2_b64 s[60:61], s[60:61], exec
	s_and_b64 s[64:65], s[64:65], exec
	s_mov_b64 vcc, -1
	s_or_b64 s[60:61], s[60:61], s[64:65]
	s_and_saveexec_b64 s[64:65], s[62:63]
	s_cbranch_execz .LBB6_146
; %bb.150:                              ;   in Loop: Header=BB6_147 Depth=4
	s_sleep 1
	s_trap 2
	ds_read_b64 v[4:5], v0
	s_andn2_b64 s[60:61], s[60:61], exec
	s_waitcnt lgkmcnt(0)
	v_cmp_ge_u64_e32 vcc, v[4:5], v[10:11]
	s_orn2_b64 vcc, vcc, exec
	s_branch .LBB6_146
.LBB6_151:                              ;   in Loop: Header=BB6_96 Depth=3
	s_or_b64 exec, exec, s[56:57]
	s_and_saveexec_b64 vcc, s[58:59]
	s_xor_b64 vcc, exec, vcc
	s_cbranch_execz .LBB6_153
; %bb.152:                              ;   in Loop: Header=BB6_96 Depth=3
	ds_write_b32 v0, v58
	s_trap 2
.LBB6_153:                              ;   in Loop: Header=BB6_96 Depth=3
	s_or_b64 exec, exec, s[54:55]
	;;#ASMSTART
	s_wakeup
	;;#ASMEND
.LBB6_154:                              ;   in Loop: Header=BB6_96 Depth=3
	s_or_b64 exec, exec, s[52:53]
.LBB6_155:                              ;   in Loop: Header=BB6_96 Depth=3
	s_andn2_saveexec_b64 vcc, s[50:51]
	s_cbranch_execz .LBB6_157
; %bb.156:                              ;   in Loop: Header=BB6_96 Depth=3
	s_waitcnt vmcnt(0) lgkmcnt(0)
	buffer_wbinvl1_vol
	s_barrier
.LBB6_157:                              ;   in Loop: Header=BB6_96 Depth=3
	s_or_b64 exec, exec, vcc
.LBB6_158:                              ;   in Loop: Header=BB6_96 Depth=3
	s_or_b64 exec, exec, s[22:23]
	s_trap 2
	ds_read_b64 v[4:5], v0
	v_mov_b32_e32 v37, 0
	s_waitcnt lgkmcnt(0)
	v_readfirstlane_b32 s22, v4
	v_readfirstlane_b32 s23, v5
	s_cmp_eq_u64 s[22:23], 0
	s_cselect_b64 s[22:23], -1, 0
	s_or_b64 s[22:23], s[22:23], s[22:23]
	s_and_b64 vcc, exec, s[22:23]
	s_cbranch_vccnz .LBB6_188
; %bb.159:                              ;   in Loop: Header=BB6_96 Depth=3
	s_mov_b64 s[22:23], -1
	s_and_saveexec_b64 s[50:51], s[10:11]
	s_cbranch_execz .LBB6_161
; %bb.160:                              ;   in Loop: Header=BB6_96 Depth=3
	ds_read_b32 v3, v0 offset:720
	s_waitcnt lgkmcnt(0)
	v_and_b32_e32 v3, 15, v3
	v_cmp_eq_u32_e32 vcc, 0, v3
	s_orn2_b64 s[22:23], vcc, exec
.LBB6_161:                              ;   in Loop: Header=BB6_96 Depth=3
	s_or_b64 exec, exec, s[50:51]
	s_and_saveexec_b64 s[50:51], s[14:15]
	s_cbranch_execz .LBB6_163
; %bb.162:                              ;   in Loop: Header=BB6_96 Depth=3
	ds_read_b32 v3, v0 offset:784
	s_waitcnt lgkmcnt(0)
	v_and_b32_e32 v3, 15, v3
	v_cmp_eq_u32_e32 vcc, 0, v3
	s_and_b64 vcc, s[22:23], vcc
	s_andn2_b64 s[22:23], s[22:23], exec
	s_and_b64 vcc, vcc, exec
	s_or_b64 s[22:23], s[22:23], vcc
.LBB6_163:                              ;   in Loop: Header=BB6_96 Depth=3
	s_or_b64 exec, exec, s[50:51]
	s_xor_b64 s[22:23], s[22:23], -1
	v_cmp_eq_u32_e32 vcc, 0, v2
	v_cndmask_b32_e64 v2, 0, 1, s[22:23]
	v_cndmask_b32_e32 v37, 0, v60, vcc
	;;#ASMSTART
	;;#ASMEND
	v_mov_b32_e32 v4, 0
	s_mov_b64 s[52:53], -1
	v_cmp_ne_u32_e32 vcc, 0, v2
	v_mov_b32_e32 v41, v37
	v_mov_b32_e32 v42, v36
	;; [unrolled: 1-line block ×3, first 2 shown]
	s_cbranch_vccz .LBB6_165
; %bb.164:                              ;   in Loop: Header=BB6_96 Depth=3
	s_and_saveexec_b64 s[22:23], s[52:53]
	s_cbranch_execnz .LBB6_178
	s_branch .LBB6_187
.LBB6_165:                              ;   in Loop: Header=BB6_96 Depth=3
	v_ashrrev_i32_e32 v2, 31, v37
	v_lshrrev_b32_e32 v2, 20, v2
	v_add_u32_e32 v2, v37, v2
	v_ashrrev_i32_e32 v14, 12, v2
	v_sub_u32_e32 v9, v14, v48
	v_cmp_lt_i32_e32 vcc, 0, v9
	s_and_saveexec_b64 s[22:23], vcc
	s_cbranch_execz .LBB6_169
; %bb.166:                              ;   in Loop: Header=BB6_96 Depth=3
	s_trap 2
	ds_read_b64 v[2:3], v0
	v_mov_b32_e32 v8, v60
	s_mov_b64 s[50:51], 0
	s_waitcnt lgkmcnt(0)
	v_pk_mov_b32 v[12:13], v[2:3], v[2:3] op_sel:[0,1]
.LBB6_167:                              ;   Parent Loop BB6_53 Depth=1
                                        ;     Parent Loop BB6_90 Depth=2
                                        ;       Parent Loop BB6_96 Depth=3
                                        ; =>      This Inner Loop Header: Depth=4
	v_add_co_u32_e32 v4, vcc, v54, v12
	v_addc_co_u32_e32 v5, vcc, v21, v13, vcc
	global_load_dwordx4 v[32:35], v[4:5], off glc slc
	global_load_dwordx4 v[40:43], v[4:5], off offset:1024 glc slc
	global_load_dwordx4 v[58:61], v[4:5], off offset:2048 glc slc
	s_nop 0
	global_load_dwordx4 v[4:7], v[4:5], off offset:3072 glc slc
	s_nop 0
	buffer_load_dword v0, off, s[0:3], s33 offset:180 ; 4-byte Folded Reload
	buffer_load_dword v1, off, s[0:3], s33 offset:184 ; 4-byte Folded Reload
	v_sub_u32_e32 v9, v9, v50
	s_waitcnt vmcnt(0)
	v_add_co_u32_e32 v44, vcc, v0, v2
	buffer_load_dword v0, off, s[0:3], s33 offset:188 ; 4-byte Folded Reload
	buffer_load_dword v1, off, s[0:3], s33 offset:192 ; 4-byte Folded Reload
	s_waitcnt vmcnt(0)
	v_addc_co_u32_e32 v45, vcc, v1, v3, vcc
	global_store_dwordx4 v[44:45], v[32:35], off glc slc
	global_store_dwordx4 v[44:45], v[40:43], off offset:1024 glc slc
	global_store_dwordx4 v[44:45], v[58:61], off offset:2048 glc slc
	buffer_load_dword v0, off, s[0:3], s33 offset:188 ; 4-byte Folded Reload
	buffer_load_dword v1, off, s[0:3], s33 offset:192 ; 4-byte Folded Reload
	v_add_co_u32_e32 v12, vcc, v12, v29
	global_store_dwordx4 v[44:45], v[4:7], off offset:3072 glc slc
	v_addc_co_u32_e32 v13, vcc, v13, v62, vcc
	v_add_co_u32_e32 v2, vcc, v2, v29
	v_addc_co_u32_e32 v3, vcc, v3, v62, vcc
	v_cmp_gt_i32_e32 vcc, 1, v9
	s_or_b64 s[50:51], vcc, s[50:51]
	s_waitcnt vmcnt(1)
	v_mov_b32_e32 v21, v1
	buffer_load_dword v0, off, s[0:3], s33 offset:180 ; 4-byte Folded Reload
	buffer_load_dword v1, off, s[0:3], s33 offset:184 ; 4-byte Folded Reload
	s_waitcnt vmcnt(1)
	v_mov_b32_e32 v54, v0
	s_andn2_b64 exec, exec, s[50:51]
	s_cbranch_execnz .LBB6_167
; %bb.168:                              ;   in Loop: Header=BB6_96 Depth=3
	s_or_b64 exec, exec, s[50:51]
	v_accvgpr_read_b32 v23, a13
	v_accvgpr_read_b32 v22, a12
	;; [unrolled: 1-line block ×5, first 2 shown]
	v_mov_b32_e32 v58, 1
	v_mov_b32_e32 v60, v8
.LBB6_169:                              ;   in Loop: Header=BB6_96 Depth=3
	s_or_b64 exec, exec, s[22:23]
	v_lshlrev_b32_e32 v13, 12, v14
	v_cmp_ne_u32_e32 vcc, v37, v13
	s_mov_b64 s[52:53], 0
	v_mov_b32_e32 v4, 0
                                        ; implicit-def: $vgpr41
                                        ; implicit-def: $vgpr42
                                        ; implicit-def: $vgpr2
	s_and_saveexec_b64 s[50:51], vcc
	s_cbranch_execz .LBB6_177
; %bb.170:                              ;   in Loop: Header=BB6_96 Depth=3
	v_lshlrev_b32_e32 v3, 6, v9
	v_accvgpr_read_b32 v0, a15
	v_sub_u32_e32 v3, v0, v3
	v_ashrrev_i32_e32 v4, 31, v3
	v_lshrrev_b32_e32 v4, 26, v4
	v_add_u32_e32 v4, v3, v4
	v_ashrrev_i32_e32 v5, 6, v4
	v_and_b32_e32 v4, 0xffffffc0, v4
	v_sub_u32_e32 v14, v3, v4
	v_sub_u32_e32 v2, v37, v13
	v_lshlrev_b32_e32 v3, 4, v14
	v_lshl_add_u32 v9, v5, 10, v3
	v_ashrrev_i32_e32 v3, 31, v2
	v_lshrrev_b32_e32 v3, 22, v3
	v_add_u32_e32 v3, v2, v3
	v_and_b32_e32 v32, 0xfffffc00, v3
	v_sub_u32_e32 v43, v2, v32
	v_ashrrev_i32_e32 v4, 10, v3
	v_cmp_lt_i32_e32 vcc, 15, v43
	v_sub_u32_e32 v40, v2, v9
	v_addc_co_u32_e64 v2, s[22:23], 0, v4, vcc
	v_sub_u32_e32 v33, v2, v5
	v_cmp_lt_i32_e64 s[22:23], 15, v40
	s_mov_b64 s[52:53], exec
	s_and_b64 s[22:23], s[52:53], s[22:23]
	v_accvgpr_read_b32 v0, a32
	s_mov_b64 exec, s[22:23]
	s_cbranch_execz .LBB6_174
; %bb.171:                              ;   in Loop: Header=BB6_96 Depth=3
	s_trap 2
	ds_read_b64 v[2:3], v0
	v_add_u32_e32 v12, v9, v13
	v_ashrrev_i32_e32 v9, 31, v12
	s_mov_b64 s[54:55], 0
.LBB6_172:                              ;   Parent Loop BB6_53 Depth=1
                                        ;     Parent Loop BB6_90 Depth=2
                                        ;       Parent Loop BB6_96 Depth=3
                                        ; =>      This Inner Loop Header: Depth=4
	s_waitcnt lgkmcnt(0)
	v_add_co_u32_e64 v34, s[22:23], v2, v12
	v_addc_co_u32_e64 v35, s[22:23], v3, v9, s[22:23]
	global_load_dwordx4 v[4:7], v[34:35], off glc slc
	v_add_co_u32_e64 v12, s[22:23], v12, v51
	v_sub_u32_e32 v40, v40, v0
	v_addc_co_u32_e64 v9, s[22:23], v9, v57, s[22:23]
	v_cmp_gt_i32_e64 s[22:23], 16, v40
	v_sub_u32_e32 v33, v33, v50
	s_or_b64 s[54:55], s[22:23], s[54:55]
	s_waitcnt vmcnt(0)
	global_store_dwordx4 v[34:35], v[4:7], off glc slc
	s_andn2_b64 exec, exec, s[54:55]
	s_cbranch_execnz .LBB6_172
; %bb.173:                              ;   in Loop: Header=BB6_96 Depth=3
	s_or_b64 exec, exec, s[54:55]
.LBB6_174:                              ;   in Loop: Header=BB6_96 Depth=3
	s_or_b64 exec, exec, s[52:53]
	v_and_b32_e32 v3, 15, v37
	v_cndmask_b32_e32 v41, v43, v3, vcc
	v_cmp_ne_u32_e64 s[22:23], 0, v41
	s_mov_b64 s[52:53], 0
	v_mov_b32_e32 v4, 0
                                        ; implicit-def: $vgpr42
                                        ; implicit-def: $vgpr2
	s_and_saveexec_b64 s[54:55], s[22:23]
	s_cbranch_execz .LBB6_176
; %bb.175:                              ;   in Loop: Header=BB6_96 Depth=3
	v_sub_u32_e32 v2, v43, v3
	v_cndmask_b32_e32 v2, 0, v2, vcc
	v_cmp_lt_i32_e32 vcc, 0, v33
	v_add3_u32 v4, v32, v13, v2
	v_cndmask_b32_e32 v2, 0, v50, vcc
	v_sub_u32_e32 v2, v2, v33
	v_lshl_add_u32 v42, v2, 6, v14
	v_ashrrev_i32_e32 v2, 31, v42
	v_lshrrev_b32_e32 v2, 26, v2
	v_add_u32_e32 v2, v42, v2
	s_mov_b64 s[52:53], exec
	v_ashrrev_i32_e32 v2, 6, v2
.LBB6_176:                              ;   in Loop: Header=BB6_96 Depth=3
	s_or_b64 exec, exec, s[54:55]
	s_and_b64 s[52:53], s[52:53], exec
.LBB6_177:                              ;   in Loop: Header=BB6_96 Depth=3
	s_or_b64 exec, exec, s[50:51]
	v_accvgpr_read_b32 v8, a46
	v_accvgpr_read_b32 v9, a47
	s_and_saveexec_b64 s[22:23], s[52:53]
	s_cbranch_execz .LBB6_187
.LBB6_178:                              ;   in Loop: Header=BB6_96 Depth=3
	v_ashrrev_i32_e32 v3, 31, v41
	v_lshrrev_b32_e32 v3, 21, v3
	v_add_u32_e32 v3, v41, v3
	s_waitcnt vmcnt(0)
	v_ashrrev_i32_e32 v1, 11, v3
	v_sub_u32_e32 v43, v1, v2
	v_ashrrev_i32_e32 v3, 31, v42
	v_cmp_lt_i32_e32 vcc, 0, v43
	v_lshrrev_b32_e32 v0, 26, v3
	s_and_saveexec_b64 s[50:51], vcc
	s_cbranch_execz .LBB6_182
; %bb.179:                              ;   in Loop: Header=BB6_96 Depth=3
	s_trap 2
	ds_read_b64 v[12:13], v0
	v_add_u32_e32 v3, v42, v0
	v_and_b32_e32 v3, 0xffffffc0, v3
	v_sub_u32_e32 v3, v42, v3
	v_lshlrev_b32_e32 v2, 11, v2
	v_add3_u32 v14, v4, v3, v2
	v_accvgpr_write_b32 a52, v1
	v_accvgpr_write_b32 a4, v60
	;; [unrolled: 1-line block ×4, first 2 shown]
	v_ashrrev_i32_e32 v9, 31, v14
	s_mov_b64 s[52:53], 0
	s_waitcnt lgkmcnt(0)
	v_pk_mov_b32 v[32:33], v[12:13], v[12:13] op_sel:[0,1]
.LBB6_180:                              ;   Parent Loop BB6_53 Depth=1
                                        ;     Parent Loop BB6_90 Depth=2
                                        ;       Parent Loop BB6_96 Depth=3
                                        ; =>      This Inner Loop Header: Depth=4
	v_add_co_u32_e32 v2, vcc, v14, v32
	v_addc_co_u32_e32 v3, vcc, v9, v33, vcc
	flat_load_ubyte v4, v[2:3] glc slc
	flat_load_ubyte v5, v[2:3] offset:64 glc slc
	flat_load_ubyte v6, v[2:3] offset:128 glc slc
	;; [unrolled: 1-line block ×31, first 2 shown]
	v_add_co_u32_e32 v2, vcc, v14, v12
	v_addc_co_u32_e32 v3, vcc, v9, v13, vcc
	v_add_co_u32_e32 v32, vcc, v32, v47
	v_addc_co_u32_e32 v33, vcc, v33, v56, vcc
	v_add_co_u32_e32 v12, vcc, v12, v47
	v_sub_u32_e32 v43, v43, v50
	v_addc_co_u32_e32 v13, vcc, v13, v56, vcc
	v_cmp_gt_i32_e32 vcc, 1, v43
	s_or_b64 s[52:53], vcc, s[52:53]
	s_waitcnt vmcnt(0) lgkmcnt(0)
	flat_store_byte v[2:3], v4 glc slc
	flat_store_byte v[2:3], v5 offset:64 glc slc
	flat_store_byte v[2:3], v6 offset:128 glc slc
	;; [unrolled: 1-line block ×31, first 2 shown]
	s_andn2_b64 exec, exec, s[52:53]
	s_cbranch_execnz .LBB6_180
; %bb.181:                              ;   in Loop: Header=BB6_96 Depth=3
	s_or_b64 exec, exec, s[52:53]
	buffer_load_dword v0, off, s[0:3], s33 offset:180 ; 4-byte Folded Reload
	buffer_load_dword v1, off, s[0:3], s33 offset:184 ; 4-byte Folded Reload
	v_accvgpr_read_b32 v23, a13
	v_accvgpr_read_b32 v25, a17
	;; [unrolled: 1-line block ×16, first 2 shown]
	v_mov_b32_e32 v58, 1
	v_accvgpr_read_b32 v28, a45
	v_accvgpr_read_b32 v60, a4
	;; [unrolled: 1-line block ×3, first 2 shown]
	s_waitcnt vmcnt(0)
	v_mov_b32_e32 v54, v0
	buffer_load_dword v0, off, s[0:3], s33 offset:188 ; 4-byte Folded Reload
	buffer_load_dword v1, off, s[0:3], s33 offset:192 ; 4-byte Folded Reload
	s_waitcnt vmcnt(0)
	v_accvgpr_read_b32 v0, a51
	v_mov_b32_e32 v21, v1
	v_accvgpr_read_b32 v1, a52
.LBB6_182:                              ;   in Loop: Header=BB6_96 Depth=3
	s_or_b64 exec, exec, s[50:51]
	v_lshlrev_b32_e32 v2, 11, v1
	v_cmp_ne_u32_e32 vcc, v41, v2
	s_and_saveexec_b64 s[50:51], vcc
	s_cbranch_execz .LBB6_186
; %bb.183:                              ;   in Loop: Header=BB6_96 Depth=3
	v_add_u32_e32 v0, v42, v0
	v_and_b32_e32 v0, 0xffffffc0, v0
	v_sub_u32_e32 v0, v42, v0
	v_lshlrev_b32_e32 v1, 6, v43
	v_sub_u32_e32 v0, v0, v1
	v_add_u32_e32 v9, v2, v0
	v_sub_u32_e32 v13, v41, v9
	v_cmp_lt_i32_e32 vcc, 0, v13
	s_and_b64 exec, exec, vcc
	s_cbranch_execz .LBB6_186
; %bb.184:                              ;   in Loop: Header=BB6_96 Depth=3
	s_trap 2
	ds_read_b64 v[2:3], v0
	v_add_u32_e32 v12, v9, v4
	v_ashrrev_i32_e32 v9, 31, v12
	s_mov_b64 s[52:53], 0
.LBB6_185:                              ;   Parent Loop BB6_53 Depth=1
                                        ;     Parent Loop BB6_90 Depth=2
                                        ;       Parent Loop BB6_96 Depth=3
                                        ; =>      This Inner Loop Header: Depth=4
	s_waitcnt lgkmcnt(0)
	v_add_co_u32_e32 v4, vcc, v2, v12
	v_addc_co_u32_e32 v5, vcc, v3, v9, vcc
	flat_load_ubyte v0, v[4:5] glc slc
	v_add_co_u32_e32 v12, vcc, v12, v44
	v_sub_u32_e32 v13, v13, v44
	v_addc_co_u32_e32 v9, vcc, v9, v45, vcc
	v_cmp_gt_i32_e32 vcc, 1, v13
	s_or_b64 s[52:53], vcc, s[52:53]
	s_waitcnt vmcnt(0) lgkmcnt(0)
	flat_store_byte v[4:5], v0 glc slc
	s_andn2_b64 exec, exec, s[52:53]
	s_cbranch_execnz .LBB6_185
.LBB6_186:                              ;   in Loop: Header=BB6_96 Depth=3
	s_or_b64 exec, exec, s[50:51]
	v_accvgpr_read_b32 v8, a46
	v_accvgpr_read_b32 v9, a47
.LBB6_187:                              ;   in Loop: Header=BB6_96 Depth=3
	s_or_b64 exec, exec, s[22:23]
.LBB6_188:                              ;   in Loop: Header=BB6_96 Depth=3
	s_and_saveexec_b64 s[22:23], s[6:7]
	s_cbranch_execz .LBB6_207
; %bb.189:                              ;   in Loop: Header=BB6_96 Depth=3
	s_and_saveexec_b64 vcc, s[34:35]
	s_xor_b64 s[50:51], exec, vcc
	s_cbranch_execz .LBB6_204
; %bb.190:                              ;   in Loop: Header=BB6_96 Depth=3
	s_and_saveexec_b64 s[52:53], s[12:13]
	s_cbranch_execz .LBB6_203
; %bb.191:                              ;   in Loop: Header=BB6_96 Depth=3
	s_mov_b64 s[56:57], exec
	v_mbcnt_lo_u32_b32 v0, s56, 0
	v_mbcnt_hi_u32_b32 v0, s57, v0
	v_cmp_eq_u32_e32 vcc, 0, v0
	s_waitcnt vmcnt(0) lgkmcnt(0)
	buffer_wbinvl1_vol
	s_and_saveexec_b64 s[54:55], vcc
	s_cbranch_execz .LBB6_193
; %bb.192:                              ;   in Loop: Header=BB6_96 Depth=3
	s_bcnt1_i32_b64 vcc_lo, s[56:57]
	v_mov_b32_e32 v2, vcc_lo
	v_mov_b32_e32 v3, v38
	ds_add_u64 v0, v[2:3]
	s_trap 2
.LBB6_193:                              ;   in Loop: Header=BB6_96 Depth=3
	s_or_b64 exec, exec, s[54:55]
	s_trap 2
	ds_read_b64 v[2:3], v0
	v_add_co_u32_e32 v10, vcc, v10, v50
	v_addc_co_u32_e32 v11, vcc, 0, v11, vcc
	s_waitcnt lgkmcnt(0)
	v_cmp_lt_u64_e32 vcc, v[2:3], v[10:11]
	s_and_saveexec_b64 s[54:55], vcc
	s_cbranch_execz .LBB6_202
; %bb.194:                              ;   in Loop: Header=BB6_96 Depth=3
	s_mov_b32 s75, 0
	s_mov_b64 s[56:57], 0
                                        ; implicit-def: $sgpr58_sgpr59
                                        ; implicit-def: $sgpr60_sgpr61
	s_branch .LBB6_196
.LBB6_195:                              ;   in Loop: Header=BB6_196 Depth=4
	s_or_b64 exec, exec, s[64:65]
	s_and_b64 vcc, exec, vcc
	s_or_b64 s[56:57], vcc, s[56:57]
	s_andn2_b64 vcc, s[58:59], exec
	s_and_b64 s[58:59], s[60:61], exec
	s_or_b64 s[58:59], vcc, s[58:59]
	s_andn2_b64 exec, exec, s[56:57]
	s_cbranch_execz .LBB6_200
.LBB6_196:                              ;   Parent Loop BB6_53 Depth=1
                                        ;     Parent Loop BB6_90 Depth=2
                                        ;       Parent Loop BB6_96 Depth=3
                                        ; =>      This Inner Loop Header: Depth=4
	s_add_i32 s75, s75, 1
	s_cmpk_lg_i32 s75, 0x2710
	s_cselect_b64 s[62:63], -1, 0
	s_and_b64 vcc, exec, s[62:63]
                                        ; implicit-def: $sgpr64_sgpr65
	s_cbranch_vccnz .LBB6_198
; %bb.197:                              ;   in Loop: Header=BB6_196 Depth=4
	s_trap 2
	ds_read_b64 v[2:3], v0
	s_andn2_b64 s[62:63], s[62:63], exec
	s_mov_b32 s75, 0
	s_mov_b64 s[64:65], -1
	s_waitcnt lgkmcnt(0)
	flat_load_dword v0, v[2:3] glc
	s_waitcnt vmcnt(0) lgkmcnt(0)
	buffer_invl2
	buffer_wbinvl1_vol
	v_cmp_eq_u32_e32 vcc, 0, v0
	s_and_b64 vcc, vcc, exec
	s_or_b64 s[62:63], s[62:63], vcc
.LBB6_198:                              ;   in Loop: Header=BB6_196 Depth=4
	s_andn2_b64 s[60:61], s[60:61], exec
	s_and_b64 s[64:65], s[64:65], exec
	s_mov_b64 vcc, -1
	s_or_b64 s[60:61], s[60:61], s[64:65]
	s_and_saveexec_b64 s[64:65], s[62:63]
	s_cbranch_execz .LBB6_195
; %bb.199:                              ;   in Loop: Header=BB6_196 Depth=4
	s_sleep 1
	s_trap 2
	ds_read_b64 v[2:3], v0
	s_andn2_b64 s[60:61], s[60:61], exec
	s_waitcnt lgkmcnt(0)
	v_cmp_ge_u64_e32 vcc, v[2:3], v[10:11]
	s_orn2_b64 vcc, vcc, exec
	s_branch .LBB6_195
.LBB6_200:                              ;   in Loop: Header=BB6_96 Depth=3
	s_or_b64 exec, exec, s[56:57]
	s_and_saveexec_b64 vcc, s[58:59]
	s_xor_b64 vcc, exec, vcc
	s_cbranch_execz .LBB6_202
; %bb.201:                              ;   in Loop: Header=BB6_96 Depth=3
	ds_write_b32 v0, v58
	s_trap 2
.LBB6_202:                              ;   in Loop: Header=BB6_96 Depth=3
	s_or_b64 exec, exec, s[54:55]
	;;#ASMSTART
	s_wakeup
	;;#ASMEND
.LBB6_203:                              ;   in Loop: Header=BB6_96 Depth=3
	s_or_b64 exec, exec, s[52:53]
.LBB6_204:                              ;   in Loop: Header=BB6_96 Depth=3
	s_andn2_saveexec_b64 vcc, s[50:51]
	s_cbranch_execz .LBB6_206
; %bb.205:                              ;   in Loop: Header=BB6_96 Depth=3
	s_waitcnt vmcnt(0) lgkmcnt(0)
	buffer_wbinvl1_vol
	s_barrier
.LBB6_206:                              ;   in Loop: Header=BB6_96 Depth=3
	s_or_b64 exec, exec, vcc
.LBB6_207:                              ;   in Loop: Header=BB6_96 Depth=3
	s_or_b64 exec, exec, s[22:23]
	v_and_b32_e32 v2, 16, v55
	v_cmp_lt_i32_e32 vcc, 0, v37
	v_cmp_ne_u32_e64 s[22:23], 0, v2
	s_and_b64 vcc, s[22:23], vcc
	s_and_saveexec_b64 s[22:23], vcc
	s_cbranch_execz .LBB6_209
; %bb.208:                              ;   in Loop: Header=BB6_96 Depth=3
	s_waitcnt vmcnt(0) lgkmcnt(0)
	buffer_wbinvl1_vol
.LBB6_209:                              ;   in Loop: Header=BB6_96 Depth=3
	s_or_b64 exec, exec, s[22:23]
	v_cmp_ne_u32_e32 vcc, 0, v2
	s_and_saveexec_b64 s[22:23], vcc
	s_cbranch_execz .LBB6_95
; %bb.210:                              ;   in Loop: Header=BB6_96 Depth=3
	s_and_saveexec_b64 vcc, s[20:21]
	s_cbranch_execz .LBB6_94
; %bb.211:                              ;   in Loop: Header=BB6_96 Depth=3
	flat_store_dword v[52:53], v58
	s_branch .LBB6_94
.LBB6_212:                              ;   in Loop: Header=BB6_90 Depth=2
	s_or_b64 exec, exec, s[46:47]
	s_or_b64 exec, exec, s[44:45]
	v_cmp_gt_i32_e32 vcc, 2, v2
	s_and_saveexec_b64 s[44:45], vcc
	s_cbranch_execz .LBB6_92
.LBB6_213:                              ;   in Loop: Header=BB6_90 Depth=2
	v_cmp_eq_u32_e64 s[22:23], 0, v2
	s_mov_b64 s[46:47], 0
	s_branch .LBB6_216
.LBB6_214:                              ;   in Loop: Header=BB6_216 Depth=3
	s_or_b64 exec, exec, vcc
	v_add_co_u32_e32 v16, vcc, 2, v16
	v_addc_co_u32_e32 v17, vcc, 0, v17, vcc
	flat_store_dwordx2 v[18:19], v[16:17]
.LBB6_215:                              ;   in Loop: Header=BB6_216 Depth=3
	s_or_b64 exec, exec, s[22:23]
	v_add_u32_e32 v15, v60, v15
	s_mov_b64 s[22:23], 0
	s_andn2_b64 exec, exec, s[46:47]
	s_cbranch_execz .LBB6_262
.LBB6_216:                              ;   Parent Loop BB6_53 Depth=1
                                        ;     Parent Loop BB6_90 Depth=2
                                        ; =>    This Loop Header: Depth=3
                                        ;         Child Loop BB6_222 Depth 4
                                        ;         Child Loop BB6_246 Depth 4
	v_and_b32_e32 v0, 8, v55
	s_mov_b64 s[50:51], -1
	v_cmp_ne_u32_e32 vcc, 0, v0
	s_and_saveexec_b64 s[48:49], vcc
	s_cbranch_execz .LBB6_228
; %bb.217:                              ;   in Loop: Header=BB6_216 Depth=3
	v_add_co_u32_e32 v2, vcc, 8, v26
	v_addc_co_u32_e32 v3, vcc, 0, v27, vcc
	v_add_co_u32_e32 v12, vcc, 2, v16
	v_addc_co_u32_e32 v13, vcc, 0, v17, vcc
	v_cmp_lt_u64_e32 vcc, v[2:3], v[12:13]
	v_mov_b32_e32 v2, 1
	s_and_saveexec_b64 s[50:51], vcc
	s_cbranch_execz .LBB6_227
; %bb.218:                              ;   in Loop: Header=BB6_216 Depth=3
	s_mov_b64 s[52:53], 0
	v_mov_b32_e32 v2, 0
                                        ; implicit-def: $sgpr54_sgpr55
	s_branch .LBB6_222
.LBB6_219:                              ;   in Loop: Header=BB6_222 Depth=4
	s_or_b64 exec, exec, s[62:63]
	v_mov_b32_e32 v3, 0
	s_orn2_b64 s[60:61], s[60:61], exec
.LBB6_220:                              ;   in Loop: Header=BB6_222 Depth=4
	s_or_b64 exec, exec, s[58:59]
	s_andn2_b64 vcc, s[54:55], exec
	s_and_b64 s[54:55], s[60:61], exec
	s_or_b64 s[54:55], vcc, s[54:55]
	v_mov_b32_e32 v2, v3
.LBB6_221:                              ;   in Loop: Header=BB6_222 Depth=4
	s_or_b64 exec, exec, s[56:57]
	s_waitcnt vmcnt(0) lgkmcnt(0)
	v_add_co_u32_e32 v4, vcc, 8, v26
	v_addc_co_u32_e32 v5, vcc, 0, v27, vcc
	v_cmp_ge_u64_e32 vcc, v[4:5], v[12:13]
	s_xor_b64 s[56:57], s[54:55], -1
	s_or_b64 vcc, s[56:57], vcc
	s_and_b64 vcc, exec, vcc
	s_or_b64 s[52:53], vcc, s[52:53]
	s_andn2_b64 exec, exec, s[52:53]
	s_cbranch_execz .LBB6_226
.LBB6_222:                              ;   Parent Loop BB6_53 Depth=1
                                        ;     Parent Loop BB6_90 Depth=2
                                        ;       Parent Loop BB6_216 Depth=3
                                        ; =>      This Inner Loop Header: Depth=4
	s_sleep 1
	flat_load_dwordx2 v[26:27], v[18:19] glc
	v_and_b32_e32 v0, 64, v55
	v_cmp_eq_u32_e32 vcc, 0, v0
	s_andn2_b64 s[54:55], s[54:55], exec
	s_and_saveexec_b64 s[56:57], vcc
	s_cbranch_execz .LBB6_221
; %bb.223:                              ;   in Loop: Header=BB6_222 Depth=4
	v_add_u32_e32 v3, 1, v2
	v_cmp_lt_i32_e32 vcc, s71, v2
	s_mov_b64 s[60:61], -1
	s_and_saveexec_b64 s[58:59], vcc
	s_cbranch_execz .LBB6_220
; %bb.224:                              ;   in Loop: Header=BB6_222 Depth=4
	s_trap 2
	ds_read_b64 v[2:3], v0
	s_waitcnt vmcnt(0) lgkmcnt(0)
	flat_load_dword v2, v[2:3] glc
	s_waitcnt vmcnt(0) lgkmcnt(0)
	buffer_invl2
	buffer_wbinvl1_vol
	v_cmp_ne_u32_e32 vcc, 0, v2
	s_and_saveexec_b64 s[62:63], vcc
	s_cbranch_execz .LBB6_219
; %bb.225:                              ;   in Loop: Header=BB6_222 Depth=4
	v_or_b32_e32 v55, 64, v55
	s_xor_b64 s[60:61], exec, -1
	ds_write_b32 v0, v2
	s_trap 2
	s_branch .LBB6_219
.LBB6_226:                              ;   in Loop: Header=BB6_216 Depth=3
	s_or_b64 exec, exec, s[52:53]
	v_and_b32_e32 v2, 8, v55
.LBB6_227:                              ;   in Loop: Header=BB6_216 Depth=3
	s_or_b64 exec, exec, s[50:51]
	v_cmp_eq_u32_e32 vcc, 0, v2
	s_orn2_b64 s[50:51], vcc, exec
	;;#ASMSTART
	s_wakeup
	;;#ASMEND
.LBB6_228:                              ;   in Loop: Header=BB6_216 Depth=3
	s_or_b64 exec, exec, s[48:49]
	s_xor_b64 s[22:23], s[22:23], -1
	s_and_b64 s[22:23], exec, s[22:23]
	s_or_b64 s[46:47], s[22:23], s[46:47]
	v_sub_u32_e32 v0, v28, v15
	s_xor_b64 s[22:23], s[50:51], -1
	v_min_i32_e32 v60, v60, v0
	s_and_saveexec_b64 s[48:49], s[22:23]
	s_cbranch_execz .LBB6_238
; %bb.229:                              ;   in Loop: Header=BB6_216 Depth=3
	v_and_b32_e32 v0, 0x100, v55
	v_cmp_ne_u32_e32 vcc, 0, v0
	v_and_b32_e32 v14, 7, v16
	s_mov_b64 s[22:23], -1
                                        ; implicit-def: $vgpr2_vgpr3
	s_and_saveexec_b64 s[50:51], vcc
	s_cbranch_execz .LBB6_233
; %bb.230:                              ;   in Loop: Header=BB6_216 Depth=3
	v_mad_u64_u32 v[12:13], s[22:23], v14, 24, v[22:23]
	flat_load_dword v0, v[12:13]
	v_ashrrev_i32_e32 v61, 31, v60
	flat_store_dwordx2 v[12:13], v[60:61] offset:8
                                        ; implicit-def: $vgpr2_vgpr3
	s_waitcnt vmcnt(0) lgkmcnt(0)
	v_cmp_ne_u32_e32 vcc, 1, v0
	v_cmp_eq_u32_e64 s[22:23], 1, v0
	s_and_saveexec_b64 s[52:53], s[22:23]
	s_cbranch_execz .LBB6_232
; %bb.231:                              ;   in Loop: Header=BB6_216 Depth=3
	flat_load_dword v2, v[12:13] offset:4 glc
	s_waitcnt vmcnt(0) lgkmcnt(0)
	v_ashrrev_i32_e32 v3, 31, v2
.LBB6_232:                              ;   in Loop: Header=BB6_216 Depth=3
	s_or_b64 exec, exec, s[52:53]
	s_orn2_b64 s[22:23], vcc, exec
.LBB6_233:                              ;   in Loop: Header=BB6_216 Depth=3
	s_or_b64 exec, exec, s[50:51]
	s_and_saveexec_b64 vcc, s[22:23]
; %bb.234:                              ;   in Loop: Header=BB6_216 Depth=3
	v_mad_i64_i32 v[2:3], s[22:23], v14, v20, 0
; %bb.235:                              ;   in Loop: Header=BB6_216 Depth=3
	s_or_b64 exec, exec, vcc
	v_add_co_u32_e32 v2, vcc, v24, v2
	v_addc_co_u32_e32 v3, vcc, v25, v3, vcc
	ds_write_b64 v0, v[2:3] offset:784
	v_and_b32_e32 v0, 0x2000, v55
	v_cmp_ne_u32_e32 vcc, 0, v0
	s_and_saveexec_b64 s[22:23], vcc
	s_cbranch_execz .LBB6_237
; %bb.236:                              ;   in Loop: Header=BB6_216 Depth=3
	ds_read_b64 v[2:3], v0 offset:584
	s_waitcnt lgkmcnt(0)
	v_add_co_u32_e32 v2, vcc, 1, v2
	v_addc_co_u32_e32 v3, vcc, 0, v3, vcc
	ds_write_b64 v0, v[2:3] offset:584
.LBB6_237:                              ;   in Loop: Header=BB6_216 Depth=3
	s_or_b64 exec, exec, s[22:23]
	v_add_co_u32_e32 v16, vcc, 2, v16
	v_addc_co_u32_e32 v17, vcc, 0, v17, vcc
.LBB6_238:                              ;   in Loop: Header=BB6_216 Depth=3
	s_or_b64 exec, exec, s[48:49]
	s_and_saveexec_b64 s[22:23], s[6:7]
	s_cbranch_execz .LBB6_257
; %bb.239:                              ;   in Loop: Header=BB6_216 Depth=3
	s_and_saveexec_b64 vcc, s[34:35]
	s_xor_b64 s[48:49], exec, vcc
	s_cbranch_execz .LBB6_254
; %bb.240:                              ;   in Loop: Header=BB6_216 Depth=3
	s_and_saveexec_b64 s[50:51], s[12:13]
	s_cbranch_execz .LBB6_253
; %bb.241:                              ;   in Loop: Header=BB6_216 Depth=3
	s_mov_b64 s[54:55], exec
	v_mbcnt_lo_u32_b32 v0, s54, 0
	v_mbcnt_hi_u32_b32 v0, s55, v0
	v_cmp_eq_u32_e32 vcc, 0, v0
	s_waitcnt vmcnt(0) lgkmcnt(0)
	buffer_wbinvl1_vol
	s_and_saveexec_b64 s[52:53], vcc
	s_cbranch_execz .LBB6_243
; %bb.242:                              ;   in Loop: Header=BB6_216 Depth=3
	s_bcnt1_i32_b64 vcc_lo, s[54:55]
	v_mov_b32_e32 v2, vcc_lo
	v_mov_b32_e32 v3, v38
	ds_add_u64 v0, v[2:3]
	s_trap 2
.LBB6_243:                              ;   in Loop: Header=BB6_216 Depth=3
	s_or_b64 exec, exec, s[52:53]
	s_trap 2
	ds_read_b64 v[2:3], v0
	v_add_co_u32_e32 v10, vcc, v10, v50
	v_addc_co_u32_e32 v11, vcc, 0, v11, vcc
	s_waitcnt lgkmcnt(0)
	v_cmp_lt_u64_e32 vcc, v[2:3], v[10:11]
	s_and_saveexec_b64 s[52:53], vcc
	s_cbranch_execz .LBB6_252
; %bb.244:                              ;   in Loop: Header=BB6_216 Depth=3
	s_mov_b32 s64, 0
	s_mov_b64 s[54:55], 0
                                        ; implicit-def: $sgpr56_sgpr57
                                        ; implicit-def: $sgpr58_sgpr59
	s_branch .LBB6_246
.LBB6_245:                              ;   in Loop: Header=BB6_246 Depth=4
	s_or_b64 exec, exec, s[62:63]
	s_and_b64 vcc, exec, vcc
	s_or_b64 s[54:55], vcc, s[54:55]
	s_andn2_b64 vcc, s[56:57], exec
	s_and_b64 s[56:57], s[58:59], exec
	s_or_b64 s[56:57], vcc, s[56:57]
	s_andn2_b64 exec, exec, s[54:55]
	s_cbranch_execz .LBB6_250
.LBB6_246:                              ;   Parent Loop BB6_53 Depth=1
                                        ;     Parent Loop BB6_90 Depth=2
                                        ;       Parent Loop BB6_216 Depth=3
                                        ; =>      This Inner Loop Header: Depth=4
	s_add_i32 s64, s64, 1
	s_cmpk_lg_i32 s64, 0x2710
	s_cselect_b64 s[60:61], -1, 0
	s_and_b64 vcc, exec, s[60:61]
                                        ; implicit-def: $sgpr62_sgpr63
	s_cbranch_vccnz .LBB6_248
; %bb.247:                              ;   in Loop: Header=BB6_246 Depth=4
	s_trap 2
	ds_read_b64 v[2:3], v0
	s_andn2_b64 s[60:61], s[60:61], exec
	s_mov_b32 s64, 0
	s_mov_b64 s[62:63], -1
	s_waitcnt lgkmcnt(0)
	flat_load_dword v0, v[2:3] glc
	s_waitcnt vmcnt(0) lgkmcnt(0)
	buffer_invl2
	buffer_wbinvl1_vol
	v_cmp_eq_u32_e32 vcc, 0, v0
	s_and_b64 vcc, vcc, exec
	s_or_b64 s[60:61], s[60:61], vcc
.LBB6_248:                              ;   in Loop: Header=BB6_246 Depth=4
	s_andn2_b64 s[58:59], s[58:59], exec
	s_and_b64 s[62:63], s[62:63], exec
	s_mov_b64 vcc, -1
	s_or_b64 s[58:59], s[58:59], s[62:63]
	s_and_saveexec_b64 s[62:63], s[60:61]
	s_cbranch_execz .LBB6_245
; %bb.249:                              ;   in Loop: Header=BB6_246 Depth=4
	s_sleep 1
	s_trap 2
	ds_read_b64 v[2:3], v0
	s_andn2_b64 s[58:59], s[58:59], exec
	s_waitcnt lgkmcnt(0)
	v_cmp_ge_u64_e32 vcc, v[2:3], v[10:11]
	s_orn2_b64 vcc, vcc, exec
	s_branch .LBB6_245
.LBB6_250:                              ;   in Loop: Header=BB6_216 Depth=3
	s_or_b64 exec, exec, s[54:55]
	s_and_saveexec_b64 vcc, s[56:57]
	s_xor_b64 vcc, exec, vcc
	s_cbranch_execz .LBB6_252
; %bb.251:                              ;   in Loop: Header=BB6_216 Depth=3
	ds_write_b32 v0, v58
	s_trap 2
.LBB6_252:                              ;   in Loop: Header=BB6_216 Depth=3
	s_or_b64 exec, exec, s[52:53]
	;;#ASMSTART
	s_wakeup
	;;#ASMEND
.LBB6_253:                              ;   in Loop: Header=BB6_216 Depth=3
	s_or_b64 exec, exec, s[50:51]
.LBB6_254:                              ;   in Loop: Header=BB6_216 Depth=3
	s_andn2_saveexec_b64 vcc, s[48:49]
	s_cbranch_execz .LBB6_256
; %bb.255:                              ;   in Loop: Header=BB6_216 Depth=3
	s_waitcnt vmcnt(0) lgkmcnt(0)
	buffer_wbinvl1_vol
	s_barrier
.LBB6_256:                              ;   in Loop: Header=BB6_216 Depth=3
	s_or_b64 exec, exec, vcc
.LBB6_257:                              ;   in Loop: Header=BB6_216 Depth=3
	s_or_b64 exec, exec, s[22:23]
	s_trap 2
	ds_read_b32 v0, v0
	v_cmp_lt_i32_e32 vcc, 0, v60
	v_and_b32_e32 v2, 16, v55
	s_waitcnt lgkmcnt(0)
	v_readfirstlane_b32 s22, v0
	s_cmp_eq_u32 s22, 0
	s_cselect_b64 s[22:23], -1, 0
	s_and_b64 s[22:23], vcc, s[22:23]
	v_cmp_ne_u32_e32 vcc, 0, v2
	s_and_b64 vcc, vcc, s[22:23]
	s_and_saveexec_b64 s[22:23], vcc
	s_cbranch_execz .LBB6_259
; %bb.258:                              ;   in Loop: Header=BB6_216 Depth=3
	s_waitcnt vmcnt(0)
	buffer_wbinvl1_vol
.LBB6_259:                              ;   in Loop: Header=BB6_216 Depth=3
	s_or_b64 exec, exec, s[22:23]
	v_cmp_ne_u32_e32 vcc, 0, v2
	s_and_saveexec_b64 s[22:23], vcc
	s_cbranch_execz .LBB6_215
; %bb.260:                              ;   in Loop: Header=BB6_216 Depth=3
	s_and_saveexec_b64 vcc, s[20:21]
	s_cbranch_execz .LBB6_214
; %bb.261:                              ;   in Loop: Header=BB6_216 Depth=3
	flat_store_dword v[52:53], v58
	s_branch .LBB6_214
.LBB6_262:                              ;   in Loop: Header=BB6_90 Depth=2
	s_or_b64 exec, exec, s[46:47]
	s_or_b64 exec, exec, s[44:45]
	s_andn2_b64 vcc, exec, s[40:41]
	s_cbranch_vccnz .LBB6_446
.LBB6_263:                              ;   in Loop: Header=BB6_90 Depth=2
	s_mov_b32 s74, 0
	s_branch .LBB6_266
.LBB6_264:                              ;   in Loop: Header=BB6_266 Depth=3
	s_or_b64 exec, exec, s[46:47]
.LBB6_265:                              ;   in Loop: Header=BB6_266 Depth=3
	s_or_b64 exec, exec, s[44:45]
	s_add_i32 s74, s74, 1
	s_cmp_ge_i32 s74, s73
	s_cbranch_scc1 .LBB6_445
.LBB6_266:                              ;   Parent Loop BB6_53 Depth=1
                                        ;     Parent Loop BB6_90 Depth=2
                                        ; =>    This Loop Header: Depth=3
                                        ;         Child Loop BB6_270 Depth 4
                                        ;           Child Loop BB6_278 Depth 5
                                        ;           Child Loop BB6_306 Depth 5
	;; [unrolled: 1-line block ×8, first 2 shown]
                                        ;         Child Loop BB6_394 Depth 4
                                        ;           Child Loop BB6_400 Depth 5
                                        ;           Child Loop BB6_428 Depth 5
	v_mov_b32_e32 v2, 0
	v_accvgpr_read_b32 v8, a50
	v_mov_b32_e32 v40, 0
	s_and_saveexec_b64 s[44:45], s[42:43]
	s_cbranch_execnz .LBB6_268
; %bb.267:                              ;   in Loop: Header=BB6_266 Depth=3
	s_or_b64 exec, exec, s[44:45]
	v_cmp_gt_i32_e32 vcc, 2, v2
	s_and_saveexec_b64 s[44:45], vcc
	s_cbranch_execz .LBB6_265
	s_branch .LBB6_392
.LBB6_268:                              ;   in Loop: Header=BB6_266 Depth=3
	s_mov_b32 s75, 1
	s_mov_b64 s[48:49], -1
	s_mov_b64 s[46:47], 0
	v_mov_b32_e32 v40, 0
	v_accvgpr_read_b32 v8, a50
	s_branch .LBB6_270
.LBB6_269:                              ;   in Loop: Header=BB6_270 Depth=4
	s_or_b64 exec, exec, s[22:23]
	v_add_u32_e32 v40, v8, v40
	v_cmp_ge_i32_e32 vcc, v40, v28
	s_xor_b64 s[22:23], s[48:49], -1
	s_or_b64 s[22:23], s[22:23], vcc
	s_and_b64 s[22:23], exec, s[22:23]
	s_or_b64 s[46:47], s[22:23], s[46:47]
	s_mov_b64 s[48:49], 0
	v_mov_b32_e32 v2, s75
	s_mov_b32 s75, 2
	s_andn2_b64 exec, exec, s[46:47]
	s_cbranch_execz .LBB6_391
.LBB6_270:                              ;   Parent Loop BB6_53 Depth=1
                                        ;     Parent Loop BB6_90 Depth=2
                                        ;       Parent Loop BB6_266 Depth=3
                                        ; =>      This Loop Header: Depth=4
                                        ;           Child Loop BB6_278 Depth 5
                                        ;           Child Loop BB6_306 Depth 5
                                        ;           Child Loop BB6_325 Depth 5
                                        ;           Child Loop BB6_345 Depth 5
                                        ;           Child Loop BB6_350 Depth 5
                                        ;           Child Loop BB6_358 Depth 5
                                        ;           Child Loop BB6_363 Depth 5
                                        ;           Child Loop BB6_374 Depth 5
	s_and_saveexec_b64 s[22:23], s[4:5]
	s_cbranch_execz .LBB6_272
; %bb.271:                              ;   in Loop: Header=BB6_270 Depth=4
	v_mov_b32_e32 v39, v38
	ds_write_b64 v0, v[38:39]
	s_trap 2
.LBB6_272:                              ;   in Loop: Header=BB6_270 Depth=4
	s_or_b64 exec, exec, s[22:23]
	v_and_b32_e32 v0, 12, v55
	v_cmp_ne_u32_e32 vcc, 0, v0
	s_mov_b64 s[50:51], -1
	s_and_saveexec_b64 s[22:23], vcc
	s_cbranch_execz .LBB6_284
; %bb.273:                              ;   in Loop: Header=BB6_270 Depth=4
	v_and_b32_e32 v12, 8, v55
	v_add_co_u32_e32 v2, vcc, v26, v12
	v_addc_co_u32_e32 v3, vcc, 0, v27, vcc
	v_add_co_u32_e32 v14, vcc, 2, v16
	v_addc_co_u32_e32 v15, vcc, 0, v17, vcc
	v_cmp_lt_u64_e32 vcc, v[2:3], v[14:15]
	v_mov_b32_e32 v2, 1
	s_and_saveexec_b64 s[50:51], vcc
	s_cbranch_execz .LBB6_283
; %bb.274:                              ;   in Loop: Header=BB6_270 Depth=4
	s_mov_b64 s[52:53], 0
	v_mov_b32_e32 v2, 0
                                        ; implicit-def: $sgpr54_sgpr55
	s_branch .LBB6_278
.LBB6_275:                              ;   in Loop: Header=BB6_278 Depth=5
	s_or_b64 exec, exec, s[62:63]
	v_mov_b32_e32 v3, 0
	s_orn2_b64 s[60:61], s[60:61], exec
.LBB6_276:                              ;   in Loop: Header=BB6_278 Depth=5
	s_or_b64 exec, exec, s[58:59]
	s_andn2_b64 vcc, s[54:55], exec
	s_and_b64 s[54:55], s[60:61], exec
	s_or_b64 s[54:55], vcc, s[54:55]
	v_mov_b32_e32 v2, v3
.LBB6_277:                              ;   in Loop: Header=BB6_278 Depth=5
	s_or_b64 exec, exec, s[56:57]
	s_waitcnt vmcnt(0) lgkmcnt(0)
	v_add_co_u32_e32 v4, vcc, v26, v12
	v_addc_co_u32_e32 v5, vcc, 0, v27, vcc
	v_cmp_ge_u64_e32 vcc, v[4:5], v[14:15]
	s_xor_b64 s[56:57], s[54:55], -1
	s_or_b64 vcc, s[56:57], vcc
	s_and_b64 vcc, exec, vcc
	s_or_b64 s[52:53], vcc, s[52:53]
	s_andn2_b64 exec, exec, s[52:53]
	s_cbranch_execz .LBB6_282
.LBB6_278:                              ;   Parent Loop BB6_53 Depth=1
                                        ;     Parent Loop BB6_90 Depth=2
                                        ;       Parent Loop BB6_266 Depth=3
                                        ;         Parent Loop BB6_270 Depth=4
                                        ; =>        This Inner Loop Header: Depth=5
	s_sleep 1
	flat_load_dwordx2 v[26:27], v[18:19] glc
	v_and_b32_e32 v0, 64, v55
	v_cmp_eq_u32_e32 vcc, 0, v0
	s_andn2_b64 s[54:55], s[54:55], exec
	s_and_saveexec_b64 s[56:57], vcc
	s_cbranch_execz .LBB6_277
; %bb.279:                              ;   in Loop: Header=BB6_278 Depth=5
	v_add_u32_e32 v3, 1, v2
	v_cmp_lt_i32_e32 vcc, s71, v2
	s_mov_b64 s[60:61], -1
	s_and_saveexec_b64 s[58:59], vcc
	s_cbranch_execz .LBB6_276
; %bb.280:                              ;   in Loop: Header=BB6_278 Depth=5
	s_trap 2
	ds_read_b64 v[2:3], v0
	s_waitcnt vmcnt(0) lgkmcnt(0)
	flat_load_dword v2, v[2:3] glc
	s_waitcnt vmcnt(0) lgkmcnt(0)
	buffer_invl2
	buffer_wbinvl1_vol
	v_cmp_ne_u32_e32 vcc, 0, v2
	s_and_saveexec_b64 s[62:63], vcc
	s_cbranch_execz .LBB6_275
; %bb.281:                              ;   in Loop: Header=BB6_278 Depth=5
	v_or_b32_e32 v55, 64, v55
	s_xor_b64 s[60:61], exec, -1
	ds_write_b32 v0, v2
	s_trap 2
	s_branch .LBB6_275
.LBB6_282:                              ;   in Loop: Header=BB6_270 Depth=4
	s_or_b64 exec, exec, s[52:53]
	v_and_b32_e32 v2, 12, v55
.LBB6_283:                              ;   in Loop: Header=BB6_270 Depth=4
	s_or_b64 exec, exec, s[50:51]
	v_cmp_eq_u32_e32 vcc, 0, v2
	s_orn2_b64 s[50:51], vcc, exec
	;;#ASMSTART
	s_wakeup
	;;#ASMEND
.LBB6_284:                              ;   in Loop: Header=BB6_270 Depth=4
	s_or_b64 exec, exec, s[22:23]
	v_sub_u32_e32 v0, v28, v40
	s_xor_b64 s[22:23], s[50:51], -1
	v_min_i32_e32 v8, v8, v0
	s_and_saveexec_b64 s[50:51], s[22:23]
	s_cbranch_execz .LBB6_298
; %bb.285:                              ;   in Loop: Header=BB6_270 Depth=4
	v_and_b32_e32 v0, 0x108, v55
	v_cmp_ne_u32_e32 vcc, s72, v0
	v_and_b32_e32 v2, 7, v16
	s_and_saveexec_b64 s[22:23], vcc
	s_xor_b64 s[22:23], exec, s[22:23]
                                        ; implicit-def: $vgpr12_vgpr13
; %bb.286:                              ;   in Loop: Header=BB6_270 Depth=4
	v_mov_b32_e32 v13, v38
; %bb.287:                              ;   in Loop: Header=BB6_270 Depth=4
	s_andn2_saveexec_b64 s[22:23], s[22:23]
	s_cbranch_execz .LBB6_289
; %bb.288:                              ;   in Loop: Header=BB6_270 Depth=4
	v_mov_b32_e32 v13, v38
	v_mad_u64_u32 v[4:5], vcc, v2, 24, v[22:23]
	v_ashrrev_i32_e32 v9, 31, v8
	flat_store_dwordx2 v[4:5], v[8:9] offset:8
.LBB6_289:                              ;   in Loop: Header=BB6_270 Depth=4
	s_or_b64 exec, exec, s[22:23]
	v_and_b32_e32 v0, 0x100, v55
	v_cmp_ne_u32_e32 vcc, 0, v0
	s_mov_b64 s[22:23], -1
                                        ; implicit-def: $vgpr14_vgpr15
	s_and_saveexec_b64 s[52:53], vcc
	s_cbranch_execz .LBB6_293
; %bb.290:                              ;   in Loop: Header=BB6_270 Depth=4
	v_mad_u64_u32 v[32:33], s[22:23], v2, 24, v[22:23]
	v_mov_b32_e32 v4, v33
	v_mad_u64_u32 v[4:5], s[22:23], v13, 24, v[4:5]
	v_mov_b32_e32 v33, v4
	flat_load_dword v0, v[32:33]
                                        ; implicit-def: $vgpr14_vgpr15
	s_waitcnt vmcnt(0) lgkmcnt(0)
	v_cmp_ne_u32_e32 vcc, 1, v0
	v_cmp_eq_u32_e64 s[22:23], 1, v0
	s_and_saveexec_b64 s[54:55], s[22:23]
	s_cbranch_execz .LBB6_292
; %bb.291:                              ;   in Loop: Header=BB6_270 Depth=4
	flat_load_dword v14, v[32:33] offset:4 glc
	s_waitcnt vmcnt(0) lgkmcnt(0)
	v_ashrrev_i32_e32 v15, 31, v14
.LBB6_292:                              ;   in Loop: Header=BB6_270 Depth=4
	s_or_b64 exec, exec, s[54:55]
	s_orn2_b64 s[22:23], vcc, exec
.LBB6_293:                              ;   in Loop: Header=BB6_270 Depth=4
	s_or_b64 exec, exec, s[52:53]
	s_and_saveexec_b64 vcc, s[22:23]
	s_cbranch_execz .LBB6_295
; %bb.294:                              ;   in Loop: Header=BB6_270 Depth=4
	v_mul_lo_u32 v0, v13, v20
	s_waitcnt vmcnt(0)
	v_mul_lo_u32 v1, v2, v59
	v_mad_u64_u32 v[14:15], s[22:23], v2, v20, 0
	v_add3_u32 v15, v15, v1, v0
.LBB6_295:                              ;   in Loop: Header=BB6_270 Depth=4
	s_or_b64 exec, exec, vcc
	v_add_co_u32_e32 v2, vcc, v24, v14
	v_addc_co_u32_e32 v3, vcc, v25, v15, vcc
	s_trap 2
	ds_write_b64 v0, v[2:3]
	v_and_b32_e32 v0, 0x2000, v55
	v_cmp_ne_u32_e32 vcc, 0, v0
	s_and_saveexec_b64 s[22:23], vcc
	s_cbranch_execz .LBB6_297
; %bb.296:                              ;   in Loop: Header=BB6_270 Depth=4
	ds_read_b64 v[2:3], v0 offset:584
	s_waitcnt lgkmcnt(0)
	v_add_co_u32_e32 v2, vcc, 1, v2
	v_addc_co_u32_e32 v3, vcc, 0, v3, vcc
	ds_write_b64 v0, v[2:3] offset:584
.LBB6_297:                              ;   in Loop: Header=BB6_270 Depth=4
	s_or_b64 exec, exec, s[22:23]
	v_add_co_u32_e32 v16, vcc, 2, v16
	v_addc_co_u32_e32 v17, vcc, 0, v17, vcc
.LBB6_298:                              ;   in Loop: Header=BB6_270 Depth=4
	s_or_b64 exec, exec, s[50:51]
	s_and_saveexec_b64 s[22:23], s[6:7]
	s_cbranch_execz .LBB6_317
; %bb.299:                              ;   in Loop: Header=BB6_270 Depth=4
	s_and_saveexec_b64 vcc, s[34:35]
	s_xor_b64 s[50:51], exec, vcc
	s_cbranch_execz .LBB6_314
; %bb.300:                              ;   in Loop: Header=BB6_270 Depth=4
	s_and_saveexec_b64 s[52:53], s[12:13]
	s_cbranch_execz .LBB6_313
; %bb.301:                              ;   in Loop: Header=BB6_270 Depth=4
	s_mov_b64 s[56:57], exec
	v_mbcnt_lo_u32_b32 v0, s56, 0
	v_mbcnt_hi_u32_b32 v0, s57, v0
	v_cmp_eq_u32_e32 vcc, 0, v0
	s_waitcnt vmcnt(0) lgkmcnt(0)
	buffer_wbinvl1_vol
	s_and_saveexec_b64 s[54:55], vcc
	s_cbranch_execz .LBB6_303
; %bb.302:                              ;   in Loop: Header=BB6_270 Depth=4
	s_bcnt1_i32_b64 vcc_lo, s[56:57]
	v_mov_b32_e32 v2, vcc_lo
	v_mov_b32_e32 v3, v38
	ds_add_u64 v0, v[2:3]
	s_trap 2
.LBB6_303:                              ;   in Loop: Header=BB6_270 Depth=4
	s_or_b64 exec, exec, s[54:55]
	s_trap 2
	ds_read_b64 v[2:3], v0
	v_add_co_u32_e32 v10, vcc, v10, v50
	v_addc_co_u32_e32 v11, vcc, 0, v11, vcc
	s_waitcnt lgkmcnt(0)
	v_cmp_lt_u64_e32 vcc, v[2:3], v[10:11]
	s_and_saveexec_b64 s[54:55], vcc
	s_cbranch_execz .LBB6_312
; %bb.304:                              ;   in Loop: Header=BB6_270 Depth=4
	s_mov_b32 s76, 0
	s_mov_b64 s[56:57], 0
                                        ; implicit-def: $sgpr58_sgpr59
                                        ; implicit-def: $sgpr60_sgpr61
	s_branch .LBB6_306
.LBB6_305:                              ;   in Loop: Header=BB6_306 Depth=5
	s_or_b64 exec, exec, s[64:65]
	s_and_b64 vcc, exec, vcc
	s_or_b64 s[56:57], vcc, s[56:57]
	s_andn2_b64 vcc, s[58:59], exec
	s_and_b64 s[58:59], s[60:61], exec
	s_or_b64 s[58:59], vcc, s[58:59]
	s_andn2_b64 exec, exec, s[56:57]
	s_cbranch_execz .LBB6_310
.LBB6_306:                              ;   Parent Loop BB6_53 Depth=1
                                        ;     Parent Loop BB6_90 Depth=2
                                        ;       Parent Loop BB6_266 Depth=3
                                        ;         Parent Loop BB6_270 Depth=4
                                        ; =>        This Inner Loop Header: Depth=5
	s_add_i32 s76, s76, 1
	s_cmpk_lg_i32 s76, 0x2710
	s_cselect_b64 s[62:63], -1, 0
	s_and_b64 vcc, exec, s[62:63]
                                        ; implicit-def: $sgpr64_sgpr65
	s_cbranch_vccnz .LBB6_308
; %bb.307:                              ;   in Loop: Header=BB6_306 Depth=5
	s_trap 2
	ds_read_b64 v[2:3], v0
	s_andn2_b64 s[62:63], s[62:63], exec
	s_mov_b32 s76, 0
	s_mov_b64 s[64:65], -1
	s_waitcnt lgkmcnt(0)
	flat_load_dword v0, v[2:3] glc
	s_waitcnt vmcnt(0) lgkmcnt(0)
	buffer_invl2
	buffer_wbinvl1_vol
	v_cmp_eq_u32_e32 vcc, 0, v0
	s_and_b64 vcc, vcc, exec
	s_or_b64 s[62:63], s[62:63], vcc
.LBB6_308:                              ;   in Loop: Header=BB6_306 Depth=5
	s_andn2_b64 s[60:61], s[60:61], exec
	s_and_b64 s[64:65], s[64:65], exec
	s_mov_b64 vcc, -1
	s_or_b64 s[60:61], s[60:61], s[64:65]
	s_and_saveexec_b64 s[64:65], s[62:63]
	s_cbranch_execz .LBB6_305
; %bb.309:                              ;   in Loop: Header=BB6_306 Depth=5
	s_sleep 1
	s_trap 2
	ds_read_b64 v[2:3], v0
	s_andn2_b64 s[60:61], s[60:61], exec
	s_waitcnt lgkmcnt(0)
	v_cmp_ge_u64_e32 vcc, v[2:3], v[10:11]
	s_orn2_b64 vcc, vcc, exec
	s_branch .LBB6_305
.LBB6_310:                              ;   in Loop: Header=BB6_270 Depth=4
	s_or_b64 exec, exec, s[56:57]
	s_and_saveexec_b64 vcc, s[58:59]
	s_xor_b64 vcc, exec, vcc
	s_cbranch_execz .LBB6_312
; %bb.311:                              ;   in Loop: Header=BB6_270 Depth=4
	ds_write_b32 v0, v58
	s_trap 2
.LBB6_312:                              ;   in Loop: Header=BB6_270 Depth=4
	s_or_b64 exec, exec, s[54:55]
	;;#ASMSTART
	s_wakeup
	;;#ASMEND
.LBB6_313:                              ;   in Loop: Header=BB6_270 Depth=4
	s_or_b64 exec, exec, s[52:53]
.LBB6_314:                              ;   in Loop: Header=BB6_270 Depth=4
	s_andn2_saveexec_b64 vcc, s[50:51]
	s_cbranch_execz .LBB6_316
; %bb.315:                              ;   in Loop: Header=BB6_270 Depth=4
	s_waitcnt vmcnt(0) lgkmcnt(0)
	buffer_wbinvl1_vol
	s_barrier
.LBB6_316:                              ;   in Loop: Header=BB6_270 Depth=4
	s_or_b64 exec, exec, vcc
.LBB6_317:                              ;   in Loop: Header=BB6_270 Depth=4
	s_or_b64 exec, exec, s[22:23]
	s_trap 2
	ds_read_b32 v2, v0
	v_and_b32_e32 v0, 0x4000, v55
	v_cmp_ne_u32_e32 vcc, 0, v0
	s_xor_b64 s[22:23], s[16:17], -1
	s_and_b64 vcc, s[22:23], vcc
	s_and_saveexec_b64 s[22:23], vcc
	s_cbranch_execz .LBB6_336
; %bb.318:                              ;   in Loop: Header=BB6_270 Depth=4
	s_and_saveexec_b64 vcc, s[34:35]
	s_xor_b64 s[50:51], exec, vcc
	s_cbranch_execz .LBB6_333
; %bb.319:                              ;   in Loop: Header=BB6_270 Depth=4
	s_and_saveexec_b64 s[52:53], s[12:13]
	s_cbranch_execz .LBB6_332
; %bb.320:                              ;   in Loop: Header=BB6_270 Depth=4
	s_mov_b64 s[56:57], exec
	v_mbcnt_lo_u32_b32 v0, s56, 0
	v_mbcnt_hi_u32_b32 v0, s57, v0
	v_cmp_eq_u32_e32 vcc, 0, v0
	s_waitcnt vmcnt(0) lgkmcnt(0)
	buffer_wbinvl1_vol
	s_and_saveexec_b64 s[54:55], vcc
	s_cbranch_execz .LBB6_322
; %bb.321:                              ;   in Loop: Header=BB6_270 Depth=4
	s_bcnt1_i32_b64 vcc_lo, s[56:57]
	v_mov_b32_e32 v4, vcc_lo
	v_mov_b32_e32 v5, v38
	ds_add_u64 v0, v[4:5]
	s_trap 2
.LBB6_322:                              ;   in Loop: Header=BB6_270 Depth=4
	s_or_b64 exec, exec, s[54:55]
	s_trap 2
	ds_read_b64 v[4:5], v0
	v_add_co_u32_e32 v10, vcc, v10, v50
	v_addc_co_u32_e32 v11, vcc, 0, v11, vcc
	s_waitcnt lgkmcnt(0)
	v_cmp_lt_u64_e32 vcc, v[4:5], v[10:11]
	s_and_saveexec_b64 s[54:55], vcc
	s_cbranch_execz .LBB6_331
; %bb.323:                              ;   in Loop: Header=BB6_270 Depth=4
	s_mov_b32 s76, 0
	s_mov_b64 s[56:57], 0
                                        ; implicit-def: $sgpr58_sgpr59
                                        ; implicit-def: $sgpr60_sgpr61
	s_branch .LBB6_325
.LBB6_324:                              ;   in Loop: Header=BB6_325 Depth=5
	s_or_b64 exec, exec, s[64:65]
	s_and_b64 vcc, exec, vcc
	s_or_b64 s[56:57], vcc, s[56:57]
	s_andn2_b64 vcc, s[58:59], exec
	s_and_b64 s[58:59], s[60:61], exec
	s_or_b64 s[58:59], vcc, s[58:59]
	s_andn2_b64 exec, exec, s[56:57]
	s_cbranch_execz .LBB6_329
.LBB6_325:                              ;   Parent Loop BB6_53 Depth=1
                                        ;     Parent Loop BB6_90 Depth=2
                                        ;       Parent Loop BB6_266 Depth=3
                                        ;         Parent Loop BB6_270 Depth=4
                                        ; =>        This Inner Loop Header: Depth=5
	s_add_i32 s76, s76, 1
	s_cmpk_lg_i32 s76, 0x2710
	s_cselect_b64 s[62:63], -1, 0
	s_and_b64 vcc, exec, s[62:63]
                                        ; implicit-def: $sgpr64_sgpr65
	s_cbranch_vccnz .LBB6_327
; %bb.326:                              ;   in Loop: Header=BB6_325 Depth=5
	s_trap 2
	ds_read_b64 v[4:5], v0
	s_andn2_b64 s[62:63], s[62:63], exec
	s_mov_b32 s76, 0
	s_mov_b64 s[64:65], -1
	s_waitcnt lgkmcnt(0)
	flat_load_dword v0, v[4:5] glc
	s_waitcnt vmcnt(0) lgkmcnt(0)
	buffer_invl2
	buffer_wbinvl1_vol
	v_cmp_eq_u32_e32 vcc, 0, v0
	s_and_b64 vcc, vcc, exec
	s_or_b64 s[62:63], s[62:63], vcc
.LBB6_327:                              ;   in Loop: Header=BB6_325 Depth=5
	s_andn2_b64 s[60:61], s[60:61], exec
	s_and_b64 s[64:65], s[64:65], exec
	s_mov_b64 vcc, -1
	s_or_b64 s[60:61], s[60:61], s[64:65]
	s_and_saveexec_b64 s[64:65], s[62:63]
	s_cbranch_execz .LBB6_324
; %bb.328:                              ;   in Loop: Header=BB6_325 Depth=5
	s_sleep 1
	s_trap 2
	ds_read_b64 v[4:5], v0
	s_andn2_b64 s[60:61], s[60:61], exec
	s_waitcnt lgkmcnt(0)
	v_cmp_ge_u64_e32 vcc, v[4:5], v[10:11]
	s_orn2_b64 vcc, vcc, exec
	s_branch .LBB6_324
.LBB6_329:                              ;   in Loop: Header=BB6_270 Depth=4
	s_or_b64 exec, exec, s[56:57]
	s_and_saveexec_b64 vcc, s[58:59]
	s_xor_b64 vcc, exec, vcc
	s_cbranch_execz .LBB6_331
; %bb.330:                              ;   in Loop: Header=BB6_270 Depth=4
	ds_write_b32 v0, v58
	s_trap 2
.LBB6_331:                              ;   in Loop: Header=BB6_270 Depth=4
	s_or_b64 exec, exec, s[54:55]
	;;#ASMSTART
	s_wakeup
	;;#ASMEND
.LBB6_332:                              ;   in Loop: Header=BB6_270 Depth=4
	s_or_b64 exec, exec, s[52:53]
.LBB6_333:                              ;   in Loop: Header=BB6_270 Depth=4
	s_andn2_saveexec_b64 vcc, s[50:51]
	s_cbranch_execz .LBB6_335
; %bb.334:                              ;   in Loop: Header=BB6_270 Depth=4
	s_waitcnt vmcnt(0) lgkmcnt(0)
	buffer_wbinvl1_vol
	s_barrier
.LBB6_335:                              ;   in Loop: Header=BB6_270 Depth=4
	s_or_b64 exec, exec, vcc
.LBB6_336:                              ;   in Loop: Header=BB6_270 Depth=4
	s_or_b64 exec, exec, s[22:23]
	s_trap 2
	ds_read_b64 v[4:5], v0
	v_mov_b32_e32 v15, 0
	s_waitcnt lgkmcnt(0)
	v_readfirstlane_b32 s22, v4
	v_readfirstlane_b32 s23, v5
	s_cmp_eq_u64 s[22:23], 0
	s_cselect_b64 s[22:23], -1, 0
	s_or_b64 s[22:23], s[22:23], s[22:23]
	s_and_b64 vcc, exec, s[22:23]
	s_cbranch_vccnz .LBB6_366
; %bb.337:                              ;   in Loop: Header=BB6_270 Depth=4
	s_mov_b64 s[22:23], -1
	s_and_saveexec_b64 s[50:51], s[14:15]
	s_cbranch_execz .LBB6_339
; %bb.338:                              ;   in Loop: Header=BB6_270 Depth=4
	ds_read_b32 v0, v0 offset:720
	s_waitcnt lgkmcnt(0)
	v_and_b32_e32 v0, 15, v0
	v_cmp_eq_u32_e32 vcc, 0, v0
	s_orn2_b64 s[22:23], vcc, exec
.LBB6_339:                              ;   in Loop: Header=BB6_270 Depth=4
	s_or_b64 exec, exec, s[50:51]
	s_and_saveexec_b64 s[50:51], s[14:15]
	s_cbranch_execz .LBB6_341
; %bb.340:                              ;   in Loop: Header=BB6_270 Depth=4
	ds_read_b32 v0, v0 offset:784
	s_waitcnt lgkmcnt(0)
	v_and_b32_e32 v0, 15, v0
	v_cmp_eq_u32_e32 vcc, 0, v0
	s_and_b64 vcc, s[22:23], vcc
	s_andn2_b64 s[22:23], s[22:23], exec
	s_and_b64 vcc, vcc, exec
	s_or_b64 s[22:23], s[22:23], vcc
.LBB6_341:                              ;   in Loop: Header=BB6_270 Depth=4
	s_or_b64 exec, exec, s[50:51]
	v_cmp_eq_u32_e32 vcc, 0, v2
	s_xor_b64 s[22:23], s[22:23], -1
	v_cndmask_b32_e32 v15, 0, v8, vcc
	v_cndmask_b32_e64 v0, 0, 1, s[22:23]
	v_mov_b32_e32 v37, 0
	s_mov_b64 s[52:53], -1
	;;#ASMSTART
	;;#ASMEND
	v_cmp_ne_u32_e32 vcc, 0, v0
	v_mov_b32_e32 v41, v15
	v_mov_b32_e32 v42, v36
	;; [unrolled: 1-line block ×3, first 2 shown]
	s_cbranch_vccz .LBB6_343
; %bb.342:                              ;   in Loop: Header=BB6_270 Depth=4
	s_and_saveexec_b64 s[22:23], s[52:53]
	s_cbranch_execnz .LBB6_356
	s_branch .LBB6_365
.LBB6_343:                              ;   in Loop: Header=BB6_270 Depth=4
	v_ashrrev_i32_e32 v0, 31, v15
	v_lshrrev_b32_e32 v0, 20, v0
	v_add_u32_e32 v0, v15, v0
	v_ashrrev_i32_e32 v14, 12, v0
	v_sub_u32_e32 v9, v14, v48
	v_cmp_lt_i32_e32 vcc, 0, v9
	s_and_saveexec_b64 s[22:23], vcc
	s_cbranch_execz .LBB6_347
; %bb.344:                              ;   in Loop: Header=BB6_270 Depth=4
	s_trap 2
	ds_read_b64 v[2:3], v0
	s_mov_b64 s[50:51], 0
	s_waitcnt lgkmcnt(0)
	v_pk_mov_b32 v[12:13], v[2:3], v[2:3] op_sel:[0,1]
.LBB6_345:                              ;   Parent Loop BB6_53 Depth=1
                                        ;     Parent Loop BB6_90 Depth=2
                                        ;       Parent Loop BB6_266 Depth=3
                                        ;         Parent Loop BB6_270 Depth=4
                                        ; =>        This Inner Loop Header: Depth=5
	v_add_co_u32_e32 v58, vcc, v54, v12
	v_addc_co_u32_e32 v59, vcc, v21, v13, vcc
	global_load_dwordx4 v[4:7], v[58:59], off glc slc
	global_load_dwordx4 v[32:35], v[58:59], off offset:1024 glc slc
	global_load_dwordx4 v[42:45], v[58:59], off offset:2048 glc slc
	s_nop 0
	global_load_dwordx4 v[58:61], v[58:59], off offset:3072 glc slc
	s_nop 0
	buffer_load_dword v0, off, s[0:3], s33 offset:180 ; 4-byte Folded Reload
	buffer_load_dword v1, off, s[0:3], s33 offset:184 ; 4-byte Folded Reload
	v_sub_u32_e32 v9, v9, v50
	s_waitcnt vmcnt(0)
	v_add_co_u32_e32 v48, vcc, v0, v2
	v_addc_co_u32_e32 v49, vcc, v21, v3, vcc
	global_store_dwordx4 v[48:49], v[4:7], off glc slc
	global_store_dwordx4 v[48:49], v[32:35], off offset:1024 glc slc
	global_store_dwordx4 v[48:49], v[42:45], off offset:2048 glc slc
	buffer_load_dword v0, off, s[0:3], s33 offset:180 ; 4-byte Folded Reload
	buffer_load_dword v1, off, s[0:3], s33 offset:184 ; 4-byte Folded Reload
	v_add_co_u32_e32 v12, vcc, v12, v29
	v_addc_co_u32_e32 v13, vcc, v13, v62, vcc
	v_add_co_u32_e32 v2, vcc, v2, v29
	v_addc_co_u32_e32 v3, vcc, v3, v62, vcc
	v_cmp_gt_i32_e32 vcc, 1, v9
	s_or_b64 s[50:51], vcc, s[50:51]
	global_store_dwordx4 v[48:49], v[58:61], off offset:3072 glc slc
	s_waitcnt vmcnt(2)
	v_mov_b32_e32 v54, v0
	s_andn2_b64 exec, exec, s[50:51]
	s_cbranch_execnz .LBB6_345
; %bb.346:                              ;   in Loop: Header=BB6_270 Depth=4
	s_or_b64 exec, exec, s[50:51]
	v_accvgpr_read_b32 v23, a13
	v_accvgpr_read_b32 v49, a31
	;; [unrolled: 1-line block ×7, first 2 shown]
	v_mov_b32_e32 v58, 1
.LBB6_347:                              ;   in Loop: Header=BB6_270 Depth=4
	s_or_b64 exec, exec, s[22:23]
	v_lshlrev_b32_e32 v13, 12, v14
	v_cmp_ne_u32_e32 vcc, v15, v13
	s_mov_b64 s[52:53], 0
	v_mov_b32_e32 v37, 0
                                        ; implicit-def: $vgpr41
                                        ; implicit-def: $vgpr42
                                        ; implicit-def: $vgpr2
	s_and_saveexec_b64 s[50:51], vcc
	s_cbranch_execz .LBB6_355
; %bb.348:                              ;   in Loop: Header=BB6_270 Depth=4
	s_waitcnt vmcnt(0)
	v_lshlrev_b32_e32 v1, 6, v9
	v_accvgpr_read_b32 v2, a15
	v_sub_u32_e32 v1, v2, v1
	v_ashrrev_i32_e32 v2, 31, v1
	v_lshrrev_b32_e32 v2, 26, v2
	v_add_u32_e32 v2, v1, v2
	v_ashrrev_i32_e32 v3, 6, v2
	v_and_b32_e32 v2, 0xffffffc0, v2
	v_sub_u32_e32 v14, v1, v2
	v_sub_u32_e32 v0, v15, v13
	v_lshlrev_b32_e32 v1, 4, v14
	v_lshl_add_u32 v9, v3, 10, v1
	v_ashrrev_i32_e32 v1, 31, v0
	v_lshrrev_b32_e32 v1, 22, v1
	v_add_u32_e32 v1, v0, v1
	v_and_b32_e32 v32, 0xfffffc00, v1
	v_sub_u32_e32 v43, v0, v32
	v_ashrrev_i32_e32 v2, 10, v1
	v_cmp_lt_i32_e32 vcc, 15, v43
	v_sub_u32_e32 v37, v0, v9
	v_addc_co_u32_e64 v0, s[22:23], 0, v2, vcc
	v_sub_u32_e32 v33, v0, v3
	v_cmp_lt_i32_e64 s[22:23], 15, v37
	s_mov_b64 s[52:53], exec
	s_and_b64 s[22:23], s[52:53], s[22:23]
	v_accvgpr_read_b32 v0, a32
	s_mov_b64 exec, s[22:23]
	s_cbranch_execz .LBB6_352
; %bb.349:                              ;   in Loop: Header=BB6_270 Depth=4
	s_trap 2
	ds_read_b64 v[2:3], v0
	v_add_u32_e32 v12, v9, v13
	v_ashrrev_i32_e32 v9, 31, v12
	s_mov_b64 s[54:55], 0
.LBB6_350:                              ;   Parent Loop BB6_53 Depth=1
                                        ;     Parent Loop BB6_90 Depth=2
                                        ;       Parent Loop BB6_266 Depth=3
                                        ;         Parent Loop BB6_270 Depth=4
                                        ; =>        This Inner Loop Header: Depth=5
	s_waitcnt lgkmcnt(0)
	v_add_co_u32_e64 v34, s[22:23], v2, v12
	v_addc_co_u32_e64 v35, s[22:23], v3, v9, s[22:23]
	global_load_dwordx4 v[4:7], v[34:35], off glc slc
	v_add_co_u32_e64 v12, s[22:23], v12, v51
	v_sub_u32_e32 v37, v37, v0
	v_addc_co_u32_e64 v9, s[22:23], v9, v57, s[22:23]
	v_cmp_gt_i32_e64 s[22:23], 16, v37
	v_sub_u32_e32 v33, v33, v50
	s_or_b64 s[54:55], s[22:23], s[54:55]
	s_waitcnt vmcnt(0)
	global_store_dwordx4 v[34:35], v[4:7], off glc slc
	s_andn2_b64 exec, exec, s[54:55]
	s_cbranch_execnz .LBB6_350
; %bb.351:                              ;   in Loop: Header=BB6_270 Depth=4
	s_or_b64 exec, exec, s[54:55]
.LBB6_352:                              ;   in Loop: Header=BB6_270 Depth=4
	s_or_b64 exec, exec, s[52:53]
	v_and_b32_e32 v3, 15, v15
	v_cndmask_b32_e32 v41, v43, v3, vcc
	v_cmp_ne_u32_e64 s[22:23], 0, v41
	s_mov_b64 s[52:53], 0
	v_mov_b32_e32 v37, 0
                                        ; implicit-def: $vgpr42
                                        ; implicit-def: $vgpr2
	s_and_saveexec_b64 s[54:55], s[22:23]
	s_cbranch_execz .LBB6_354
; %bb.353:                              ;   in Loop: Header=BB6_270 Depth=4
	v_sub_u32_e32 v0, v43, v3
	v_cndmask_b32_e32 v0, 0, v0, vcc
	v_cmp_lt_i32_e32 vcc, 0, v33
	v_add3_u32 v37, v32, v13, v0
	v_cndmask_b32_e32 v0, 0, v50, vcc
	v_sub_u32_e32 v0, v0, v33
	v_lshl_add_u32 v42, v0, 6, v14
	v_ashrrev_i32_e32 v0, 31, v42
	v_lshrrev_b32_e32 v0, 26, v0
	v_add_u32_e32 v0, v42, v0
	s_mov_b64 s[52:53], exec
	v_ashrrev_i32_e32 v2, 6, v0
.LBB6_354:                              ;   in Loop: Header=BB6_270 Depth=4
	s_or_b64 exec, exec, s[54:55]
	s_and_b64 s[52:53], s[52:53], exec
.LBB6_355:                              ;   in Loop: Header=BB6_270 Depth=4
	s_or_b64 exec, exec, s[50:51]
	s_and_saveexec_b64 s[22:23], s[52:53]
	s_cbranch_execz .LBB6_365
.LBB6_356:                              ;   in Loop: Header=BB6_270 Depth=4
	v_ashrrev_i32_e32 v0, 31, v41
	v_lshrrev_b32_e32 v0, 21, v0
	v_add_u32_e32 v0, v41, v0
	v_ashrrev_i32_e32 v60, 11, v0
	v_sub_u32_e32 v43, v60, v2
	v_ashrrev_i32_e32 v0, 31, v42
	v_cmp_lt_i32_e32 vcc, 0, v43
	v_lshrrev_b32_e32 v46, 26, v0
	s_and_saveexec_b64 s[50:51], vcc
	s_cbranch_execz .LBB6_360
; %bb.357:                              ;   in Loop: Header=BB6_270 Depth=4
	s_trap 2
	ds_read_b64 v[12:13], v0
	v_add_u32_e32 v0, v42, v46
	v_and_b32_e32 v0, 0xffffffc0, v0
	v_sub_u32_e32 v0, v42, v0
	s_waitcnt vmcnt(0)
	v_lshlrev_b32_e32 v1, 11, v2
	v_add3_u32 v14, v37, v0, v1
	v_accvgpr_write_b32 a26, v38
	v_accvgpr_write_b32 a4, v36
	v_ashrrev_i32_e32 v9, 31, v14
	s_mov_b64 s[52:53], 0
	s_waitcnt lgkmcnt(0)
	v_pk_mov_b32 v[32:33], v[12:13], v[12:13] op_sel:[0,1]
.LBB6_358:                              ;   Parent Loop BB6_53 Depth=1
                                        ;     Parent Loop BB6_90 Depth=2
                                        ;       Parent Loop BB6_266 Depth=3
                                        ;         Parent Loop BB6_270 Depth=4
                                        ; =>        This Inner Loop Header: Depth=5
	v_add_co_u32_e32 v2, vcc, v14, v32
	v_addc_co_u32_e32 v3, vcc, v9, v33, vcc
	flat_load_ubyte v0, v[2:3] glc slc
	flat_load_ubyte v1, v[2:3] offset:64 glc slc
	flat_load_ubyte v4, v[2:3] offset:128 glc slc
	;; [unrolled: 1-line block ×31, first 2 shown]
	v_add_co_u32_e32 v2, vcc, v14, v12
	v_addc_co_u32_e32 v3, vcc, v9, v13, vcc
	v_add_co_u32_e32 v32, vcc, v32, v47
	v_addc_co_u32_e32 v33, vcc, v33, v56, vcc
	v_add_co_u32_e32 v12, vcc, v12, v47
	v_sub_u32_e32 v43, v43, v50
	v_addc_co_u32_e32 v13, vcc, v13, v56, vcc
	v_cmp_gt_i32_e32 vcc, 1, v43
	s_or_b64 s[52:53], vcc, s[52:53]
	s_waitcnt vmcnt(0) lgkmcnt(0)
	flat_store_byte v[2:3], v0 glc slc
	flat_store_byte v[2:3], v1 offset:64 glc slc
	flat_store_byte v[2:3], v4 offset:128 glc slc
	;; [unrolled: 1-line block ×31, first 2 shown]
	s_andn2_b64 exec, exec, s[52:53]
	s_cbranch_execnz .LBB6_358
; %bb.359:                              ;   in Loop: Header=BB6_270 Depth=4
	s_or_b64 exec, exec, s[52:53]
	buffer_load_dword v0, off, s[0:3], s33 offset:180 ; 4-byte Folded Reload
	buffer_load_dword v1, off, s[0:3], s33 offset:184 ; 4-byte Folded Reload
	v_accvgpr_read_b32 v25, a17
	v_accvgpr_read_b32 v53, a19
	;; [unrolled: 1-line block ×16, first 2 shown]
	v_mov_b32_e32 v58, 1
	v_accvgpr_read_b32 v28, a45
	s_waitcnt vmcnt(0)
	v_mov_b32_e32 v54, v0
	buffer_load_dword v0, off, s[0:3], s33 offset:188 ; 4-byte Folded Reload
	buffer_load_dword v1, off, s[0:3], s33 offset:192 ; 4-byte Folded Reload
	s_waitcnt vmcnt(0)
	v_mov_b32_e32 v21, v1
.LBB6_360:                              ;   in Loop: Header=BB6_270 Depth=4
	s_or_b64 exec, exec, s[50:51]
	v_lshlrev_b32_e32 v2, 11, v60
	v_cmp_ne_u32_e32 vcc, v41, v2
	s_and_saveexec_b64 s[50:51], vcc
	s_cbranch_execz .LBB6_364
; %bb.361:                              ;   in Loop: Header=BB6_270 Depth=4
	v_add_u32_e32 v0, v42, v46
	v_and_b32_e32 v0, 0xffffffc0, v0
	v_sub_u32_e32 v0, v42, v0
	s_waitcnt vmcnt(0)
	v_lshlrev_b32_e32 v1, 6, v43
	v_sub_u32_e32 v0, v0, v1
	v_add_u32_e32 v9, v2, v0
	v_sub_u32_e32 v13, v41, v9
	v_cmp_lt_i32_e32 vcc, 0, v13
	s_and_b64 exec, exec, vcc
	s_cbranch_execz .LBB6_364
; %bb.362:                              ;   in Loop: Header=BB6_270 Depth=4
	s_trap 2
	ds_read_b64 v[2:3], v0
	v_add_u32_e32 v12, v9, v37
	v_ashrrev_i32_e32 v9, 31, v12
	s_mov_b64 s[52:53], 0
.LBB6_363:                              ;   Parent Loop BB6_53 Depth=1
                                        ;     Parent Loop BB6_90 Depth=2
                                        ;       Parent Loop BB6_266 Depth=3
                                        ;         Parent Loop BB6_270 Depth=4
                                        ; =>        This Inner Loop Header: Depth=5
	s_waitcnt lgkmcnt(0)
	v_add_co_u32_e32 v4, vcc, v2, v12
	v_addc_co_u32_e32 v5, vcc, v3, v9, vcc
	flat_load_ubyte v0, v[4:5] glc slc
	v_add_co_u32_e32 v12, vcc, v12, v44
	v_sub_u32_e32 v13, v13, v44
	v_addc_co_u32_e32 v9, vcc, v9, v45, vcc
	v_cmp_gt_i32_e32 vcc, 1, v13
	s_or_b64 s[52:53], vcc, s[52:53]
	s_waitcnt vmcnt(0) lgkmcnt(0)
	flat_store_byte v[4:5], v0 glc slc
	s_andn2_b64 exec, exec, s[52:53]
	s_cbranch_execnz .LBB6_363
.LBB6_364:                              ;   in Loop: Header=BB6_270 Depth=4
	s_or_b64 exec, exec, s[50:51]
	v_accvgpr_read_b32 v23, a13
	v_accvgpr_read_b32 v22, a12
.LBB6_365:                              ;   in Loop: Header=BB6_270 Depth=4
	s_or_b64 exec, exec, s[22:23]
.LBB6_366:                              ;   in Loop: Header=BB6_270 Depth=4
	s_and_saveexec_b64 s[22:23], s[6:7]
	s_cbranch_execz .LBB6_385
; %bb.367:                              ;   in Loop: Header=BB6_270 Depth=4
	s_and_saveexec_b64 vcc, s[34:35]
	s_xor_b64 s[50:51], exec, vcc
	s_cbranch_execz .LBB6_382
; %bb.368:                              ;   in Loop: Header=BB6_270 Depth=4
	s_and_saveexec_b64 s[52:53], s[12:13]
	s_cbranch_execz .LBB6_381
; %bb.369:                              ;   in Loop: Header=BB6_270 Depth=4
	s_mov_b64 s[56:57], exec
	v_mbcnt_lo_u32_b32 v0, s56, 0
	v_mbcnt_hi_u32_b32 v0, s57, v0
	v_cmp_eq_u32_e32 vcc, 0, v0
	s_waitcnt vmcnt(0) lgkmcnt(0)
	buffer_wbinvl1_vol
	s_and_saveexec_b64 s[54:55], vcc
	s_cbranch_execz .LBB6_371
; %bb.370:                              ;   in Loop: Header=BB6_270 Depth=4
	s_bcnt1_i32_b64 vcc_lo, s[56:57]
	v_mov_b32_e32 v2, vcc_lo
	v_mov_b32_e32 v3, v38
	ds_add_u64 v0, v[2:3]
	s_trap 2
.LBB6_371:                              ;   in Loop: Header=BB6_270 Depth=4
	s_or_b64 exec, exec, s[54:55]
	s_trap 2
	ds_read_b64 v[2:3], v0
	v_add_co_u32_e32 v10, vcc, v10, v50
	v_addc_co_u32_e32 v11, vcc, 0, v11, vcc
	s_waitcnt lgkmcnt(0)
	v_cmp_lt_u64_e32 vcc, v[2:3], v[10:11]
	s_and_saveexec_b64 s[54:55], vcc
	s_cbranch_execz .LBB6_380
; %bb.372:                              ;   in Loop: Header=BB6_270 Depth=4
	s_mov_b32 s76, 0
	s_mov_b64 s[56:57], 0
                                        ; implicit-def: $sgpr58_sgpr59
                                        ; implicit-def: $sgpr60_sgpr61
	s_branch .LBB6_374
.LBB6_373:                              ;   in Loop: Header=BB6_374 Depth=5
	s_or_b64 exec, exec, s[64:65]
	s_and_b64 vcc, exec, vcc
	s_or_b64 s[56:57], vcc, s[56:57]
	s_andn2_b64 vcc, s[58:59], exec
	s_and_b64 s[58:59], s[60:61], exec
	s_or_b64 s[58:59], vcc, s[58:59]
	s_andn2_b64 exec, exec, s[56:57]
	s_cbranch_execz .LBB6_378
.LBB6_374:                              ;   Parent Loop BB6_53 Depth=1
                                        ;     Parent Loop BB6_90 Depth=2
                                        ;       Parent Loop BB6_266 Depth=3
                                        ;         Parent Loop BB6_270 Depth=4
                                        ; =>        This Inner Loop Header: Depth=5
	s_add_i32 s76, s76, 1
	s_cmpk_lg_i32 s76, 0x2710
	s_cselect_b64 s[62:63], -1, 0
	s_and_b64 vcc, exec, s[62:63]
                                        ; implicit-def: $sgpr64_sgpr65
	s_cbranch_vccnz .LBB6_376
; %bb.375:                              ;   in Loop: Header=BB6_374 Depth=5
	s_trap 2
	ds_read_b64 v[2:3], v0
	s_andn2_b64 s[62:63], s[62:63], exec
	s_mov_b32 s76, 0
	s_mov_b64 s[64:65], -1
	s_waitcnt lgkmcnt(0)
	flat_load_dword v0, v[2:3] glc
	s_waitcnt vmcnt(0) lgkmcnt(0)
	buffer_invl2
	buffer_wbinvl1_vol
	v_cmp_eq_u32_e32 vcc, 0, v0
	s_and_b64 vcc, vcc, exec
	s_or_b64 s[62:63], s[62:63], vcc
.LBB6_376:                              ;   in Loop: Header=BB6_374 Depth=5
	s_andn2_b64 s[60:61], s[60:61], exec
	s_and_b64 s[64:65], s[64:65], exec
	s_mov_b64 vcc, -1
	s_or_b64 s[60:61], s[60:61], s[64:65]
	s_and_saveexec_b64 s[64:65], s[62:63]
	s_cbranch_execz .LBB6_373
; %bb.377:                              ;   in Loop: Header=BB6_374 Depth=5
	s_sleep 1
	s_trap 2
	ds_read_b64 v[2:3], v0
	s_andn2_b64 s[60:61], s[60:61], exec
	s_waitcnt lgkmcnt(0)
	v_cmp_ge_u64_e32 vcc, v[2:3], v[10:11]
	s_orn2_b64 vcc, vcc, exec
	s_branch .LBB6_373
.LBB6_378:                              ;   in Loop: Header=BB6_270 Depth=4
	s_or_b64 exec, exec, s[56:57]
	s_and_saveexec_b64 vcc, s[58:59]
	s_xor_b64 vcc, exec, vcc
	s_cbranch_execz .LBB6_380
; %bb.379:                              ;   in Loop: Header=BB6_270 Depth=4
	ds_write_b32 v0, v58
	s_trap 2
.LBB6_380:                              ;   in Loop: Header=BB6_270 Depth=4
	s_or_b64 exec, exec, s[54:55]
	;;#ASMSTART
	s_wakeup
	;;#ASMEND
.LBB6_381:                              ;   in Loop: Header=BB6_270 Depth=4
	s_or_b64 exec, exec, s[52:53]
.LBB6_382:                              ;   in Loop: Header=BB6_270 Depth=4
	s_andn2_saveexec_b64 vcc, s[50:51]
	s_cbranch_execz .LBB6_384
; %bb.383:                              ;   in Loop: Header=BB6_270 Depth=4
	s_waitcnt vmcnt(0) lgkmcnt(0)
	buffer_wbinvl1_vol
	s_barrier
.LBB6_384:                              ;   in Loop: Header=BB6_270 Depth=4
	s_or_b64 exec, exec, vcc
.LBB6_385:                              ;   in Loop: Header=BB6_270 Depth=4
	s_or_b64 exec, exec, s[22:23]
	v_and_b32_e32 v2, 16, v55
	v_cmp_lt_i32_e32 vcc, 0, v15
	v_cmp_ne_u32_e64 s[22:23], 0, v2
	s_and_b64 vcc, s[22:23], vcc
	s_and_saveexec_b64 s[22:23], vcc
	s_cbranch_execz .LBB6_387
; %bb.386:                              ;   in Loop: Header=BB6_270 Depth=4
	s_waitcnt vmcnt(0) lgkmcnt(0)
	buffer_wbinvl1_vol
.LBB6_387:                              ;   in Loop: Header=BB6_270 Depth=4
	s_or_b64 exec, exec, s[22:23]
	v_cmp_ne_u32_e32 vcc, 0, v2
	s_xor_b64 s[22:23], s[18:19], -1
	s_and_b64 vcc, vcc, s[22:23]
	s_and_saveexec_b64 s[22:23], vcc
	s_cbranch_execz .LBB6_389
; %bb.388:                              ;   in Loop: Header=BB6_270 Depth=4
	flat_store_dword v[52:53], v58
.LBB6_389:                              ;   in Loop: Header=BB6_270 Depth=4
	s_or_b64 exec, exec, s[22:23]
	v_and_b32_e32 v0, 48, v55
	v_cmp_ne_u32_e32 vcc, 0, v0
	s_and_saveexec_b64 s[22:23], vcc
	s_cbranch_execz .LBB6_269
; %bb.390:                              ;   in Loop: Header=BB6_270 Depth=4
	v_add_co_u32_e32 v16, vcc, 2, v16
	v_addc_co_u32_e32 v17, vcc, 0, v17, vcc
	flat_store_dwordx2 v[18:19], v[16:17]
	s_branch .LBB6_269
.LBB6_391:                              ;   in Loop: Header=BB6_266 Depth=3
	s_or_b64 exec, exec, s[46:47]
	s_or_b64 exec, exec, s[44:45]
	v_cmp_gt_i32_e32 vcc, 2, v2
	s_and_saveexec_b64 s[44:45], vcc
	s_cbranch_execz .LBB6_265
.LBB6_392:                              ;   in Loop: Header=BB6_266 Depth=3
	v_cmp_eq_u32_e64 s[22:23], 0, v2
	s_mov_b64 s[46:47], 0
	s_branch .LBB6_394
.LBB6_393:                              ;   in Loop: Header=BB6_394 Depth=4
	s_or_b64 exec, exec, s[22:23]
	v_add_u32_e32 v40, v8, v40
	s_mov_b64 s[22:23], 0
	s_andn2_b64 exec, exec, s[46:47]
	s_cbranch_execz .LBB6_264
.LBB6_394:                              ;   Parent Loop BB6_53 Depth=1
                                        ;     Parent Loop BB6_90 Depth=2
                                        ;       Parent Loop BB6_266 Depth=3
                                        ; =>      This Loop Header: Depth=4
                                        ;           Child Loop BB6_400 Depth 5
                                        ;           Child Loop BB6_428 Depth 5
	v_and_b32_e32 v0, 12, v55
	s_mov_b64 s[50:51], -1
	v_cmp_ne_u32_e32 vcc, 0, v0
	s_and_saveexec_b64 s[48:49], vcc
	s_cbranch_execz .LBB6_406
; %bb.395:                              ;   in Loop: Header=BB6_394 Depth=4
	v_and_b32_e32 v12, 8, v55
	v_add_co_u32_e32 v2, vcc, v26, v12
	v_addc_co_u32_e32 v3, vcc, 0, v27, vcc
	v_add_co_u32_e32 v14, vcc, 2, v16
	v_addc_co_u32_e32 v15, vcc, 0, v17, vcc
	v_cmp_lt_u64_e32 vcc, v[2:3], v[14:15]
	v_mov_b32_e32 v2, 1
	s_and_saveexec_b64 s[50:51], vcc
	s_cbranch_execz .LBB6_405
; %bb.396:                              ;   in Loop: Header=BB6_394 Depth=4
	s_mov_b64 s[52:53], 0
	v_mov_b32_e32 v2, 0
                                        ; implicit-def: $sgpr54_sgpr55
	s_branch .LBB6_400
.LBB6_397:                              ;   in Loop: Header=BB6_400 Depth=5
	s_or_b64 exec, exec, s[62:63]
	v_mov_b32_e32 v3, 0
	s_orn2_b64 s[60:61], s[60:61], exec
.LBB6_398:                              ;   in Loop: Header=BB6_400 Depth=5
	s_or_b64 exec, exec, s[58:59]
	s_andn2_b64 vcc, s[54:55], exec
	s_and_b64 s[54:55], s[60:61], exec
	s_or_b64 s[54:55], vcc, s[54:55]
	v_mov_b32_e32 v2, v3
.LBB6_399:                              ;   in Loop: Header=BB6_400 Depth=5
	s_or_b64 exec, exec, s[56:57]
	s_waitcnt vmcnt(0) lgkmcnt(0)
	v_add_co_u32_e32 v4, vcc, v26, v12
	v_addc_co_u32_e32 v5, vcc, 0, v27, vcc
	v_cmp_ge_u64_e32 vcc, v[4:5], v[14:15]
	s_xor_b64 s[56:57], s[54:55], -1
	s_or_b64 vcc, s[56:57], vcc
	s_and_b64 vcc, exec, vcc
	s_or_b64 s[52:53], vcc, s[52:53]
	s_andn2_b64 exec, exec, s[52:53]
	s_cbranch_execz .LBB6_404
.LBB6_400:                              ;   Parent Loop BB6_53 Depth=1
                                        ;     Parent Loop BB6_90 Depth=2
                                        ;       Parent Loop BB6_266 Depth=3
                                        ;         Parent Loop BB6_394 Depth=4
                                        ; =>        This Inner Loop Header: Depth=5
	s_sleep 1
	flat_load_dwordx2 v[26:27], v[18:19] glc
	v_and_b32_e32 v0, 64, v55
	v_cmp_eq_u32_e32 vcc, 0, v0
	s_andn2_b64 s[54:55], s[54:55], exec
	s_and_saveexec_b64 s[56:57], vcc
	s_cbranch_execz .LBB6_399
; %bb.401:                              ;   in Loop: Header=BB6_400 Depth=5
	v_add_u32_e32 v3, 1, v2
	v_cmp_lt_i32_e32 vcc, s71, v2
	s_mov_b64 s[60:61], -1
	s_and_saveexec_b64 s[58:59], vcc
	s_cbranch_execz .LBB6_398
; %bb.402:                              ;   in Loop: Header=BB6_400 Depth=5
	s_trap 2
	ds_read_b64 v[2:3], v0
	s_waitcnt vmcnt(0) lgkmcnt(0)
	flat_load_dword v2, v[2:3] glc
	s_waitcnt vmcnt(0) lgkmcnt(0)
	buffer_invl2
	buffer_wbinvl1_vol
	v_cmp_ne_u32_e32 vcc, 0, v2
	s_and_saveexec_b64 s[62:63], vcc
	s_cbranch_execz .LBB6_397
; %bb.403:                              ;   in Loop: Header=BB6_400 Depth=5
	v_or_b32_e32 v55, 64, v55
	s_xor_b64 s[60:61], exec, -1
	ds_write_b32 v0, v2
	s_trap 2
	s_branch .LBB6_397
.LBB6_404:                              ;   in Loop: Header=BB6_394 Depth=4
	s_or_b64 exec, exec, s[52:53]
	v_and_b32_e32 v2, 12, v55
.LBB6_405:                              ;   in Loop: Header=BB6_394 Depth=4
	s_or_b64 exec, exec, s[50:51]
	v_cmp_eq_u32_e32 vcc, 0, v2
	s_orn2_b64 s[50:51], vcc, exec
	;;#ASMSTART
	s_wakeup
	;;#ASMEND
.LBB6_406:                              ;   in Loop: Header=BB6_394 Depth=4
	s_or_b64 exec, exec, s[48:49]
	s_xor_b64 s[22:23], s[22:23], -1
	s_and_b64 s[22:23], exec, s[22:23]
	s_or_b64 s[46:47], s[22:23], s[46:47]
	v_sub_u32_e32 v0, v28, v40
	s_xor_b64 s[22:23], s[50:51], -1
	v_min_i32_e32 v8, v8, v0
	s_and_saveexec_b64 s[48:49], s[22:23]
	s_cbranch_execz .LBB6_420
; %bb.407:                              ;   in Loop: Header=BB6_394 Depth=4
	v_and_b32_e32 v0, 0x108, v55
	v_cmp_ne_u32_e32 vcc, s72, v0
	v_and_b32_e32 v2, 7, v16
	s_and_saveexec_b64 s[22:23], vcc
	s_xor_b64 s[22:23], exec, s[22:23]
                                        ; implicit-def: $vgpr12_vgpr13
; %bb.408:                              ;   in Loop: Header=BB6_394 Depth=4
	v_mov_b32_e32 v13, v38
; %bb.409:                              ;   in Loop: Header=BB6_394 Depth=4
	s_andn2_saveexec_b64 s[22:23], s[22:23]
	s_cbranch_execz .LBB6_411
; %bb.410:                              ;   in Loop: Header=BB6_394 Depth=4
	v_mov_b32_e32 v13, v38
	v_mad_u64_u32 v[4:5], vcc, v2, 24, v[22:23]
	v_ashrrev_i32_e32 v9, 31, v8
	flat_store_dwordx2 v[4:5], v[8:9] offset:8
.LBB6_411:                              ;   in Loop: Header=BB6_394 Depth=4
	s_or_b64 exec, exec, s[22:23]
	v_and_b32_e32 v0, 0x100, v55
	v_cmp_ne_u32_e32 vcc, 0, v0
	s_mov_b64 s[22:23], -1
                                        ; implicit-def: $vgpr14_vgpr15
	s_and_saveexec_b64 s[50:51], vcc
	s_cbranch_execz .LBB6_415
; %bb.412:                              ;   in Loop: Header=BB6_394 Depth=4
	v_mad_u64_u32 v[32:33], s[22:23], v2, 24, v[22:23]
	v_mov_b32_e32 v4, v33
	v_mad_u64_u32 v[4:5], s[22:23], v13, 24, v[4:5]
	v_mov_b32_e32 v33, v4
	flat_load_dword v0, v[32:33]
                                        ; implicit-def: $vgpr14_vgpr15
	s_waitcnt vmcnt(0) lgkmcnt(0)
	v_cmp_ne_u32_e32 vcc, 1, v0
	v_cmp_eq_u32_e64 s[22:23], 1, v0
	s_and_saveexec_b64 s[52:53], s[22:23]
	s_cbranch_execz .LBB6_414
; %bb.413:                              ;   in Loop: Header=BB6_394 Depth=4
	flat_load_dword v14, v[32:33] offset:4 glc
	s_waitcnt vmcnt(0) lgkmcnt(0)
	v_ashrrev_i32_e32 v15, 31, v14
.LBB6_414:                              ;   in Loop: Header=BB6_394 Depth=4
	s_or_b64 exec, exec, s[52:53]
	s_orn2_b64 s[22:23], vcc, exec
.LBB6_415:                              ;   in Loop: Header=BB6_394 Depth=4
	s_or_b64 exec, exec, s[50:51]
	s_and_saveexec_b64 vcc, s[22:23]
	s_cbranch_execz .LBB6_417
; %bb.416:                              ;   in Loop: Header=BB6_394 Depth=4
	v_mul_lo_u32 v0, v13, v20
	s_waitcnt vmcnt(0)
	v_mul_lo_u32 v1, v2, v59
	v_mad_u64_u32 v[14:15], s[22:23], v2, v20, 0
	v_add3_u32 v15, v15, v1, v0
.LBB6_417:                              ;   in Loop: Header=BB6_394 Depth=4
	s_or_b64 exec, exec, vcc
	v_add_co_u32_e32 v2, vcc, v24, v14
	v_addc_co_u32_e32 v3, vcc, v25, v15, vcc
	s_trap 2
	ds_write_b64 v0, v[2:3]
	v_and_b32_e32 v0, 0x2000, v55
	v_cmp_ne_u32_e32 vcc, 0, v0
	s_and_saveexec_b64 s[22:23], vcc
	s_cbranch_execz .LBB6_419
; %bb.418:                              ;   in Loop: Header=BB6_394 Depth=4
	ds_read_b64 v[2:3], v0 offset:584
	s_waitcnt lgkmcnt(0)
	v_add_co_u32_e32 v2, vcc, 1, v2
	v_addc_co_u32_e32 v3, vcc, 0, v3, vcc
	ds_write_b64 v0, v[2:3] offset:584
.LBB6_419:                              ;   in Loop: Header=BB6_394 Depth=4
	s_or_b64 exec, exec, s[22:23]
	v_add_co_u32_e32 v16, vcc, 2, v16
	v_addc_co_u32_e32 v17, vcc, 0, v17, vcc
.LBB6_420:                              ;   in Loop: Header=BB6_394 Depth=4
	s_or_b64 exec, exec, s[48:49]
	s_and_saveexec_b64 s[22:23], s[6:7]
	s_cbranch_execz .LBB6_439
; %bb.421:                              ;   in Loop: Header=BB6_394 Depth=4
	s_and_saveexec_b64 vcc, s[34:35]
	s_xor_b64 s[48:49], exec, vcc
	s_cbranch_execz .LBB6_436
; %bb.422:                              ;   in Loop: Header=BB6_394 Depth=4
	s_and_saveexec_b64 s[50:51], s[12:13]
	s_cbranch_execz .LBB6_435
; %bb.423:                              ;   in Loop: Header=BB6_394 Depth=4
	s_mov_b64 s[54:55], exec
	v_mbcnt_lo_u32_b32 v0, s54, 0
	v_mbcnt_hi_u32_b32 v0, s55, v0
	v_cmp_eq_u32_e32 vcc, 0, v0
	s_waitcnt vmcnt(0) lgkmcnt(0)
	buffer_wbinvl1_vol
	s_and_saveexec_b64 s[52:53], vcc
	s_cbranch_execz .LBB6_425
; %bb.424:                              ;   in Loop: Header=BB6_394 Depth=4
	s_bcnt1_i32_b64 vcc_lo, s[54:55]
	v_mov_b32_e32 v2, vcc_lo
	v_mov_b32_e32 v3, v38
	ds_add_u64 v0, v[2:3]
	s_trap 2
.LBB6_425:                              ;   in Loop: Header=BB6_394 Depth=4
	s_or_b64 exec, exec, s[52:53]
	s_trap 2
	ds_read_b64 v[2:3], v0
	v_add_co_u32_e32 v10, vcc, v10, v50
	v_addc_co_u32_e32 v11, vcc, 0, v11, vcc
	s_waitcnt lgkmcnt(0)
	v_cmp_lt_u64_e32 vcc, v[2:3], v[10:11]
	s_and_saveexec_b64 s[52:53], vcc
	s_cbranch_execz .LBB6_434
; %bb.426:                              ;   in Loop: Header=BB6_394 Depth=4
	s_mov_b32 s64, 0
	s_mov_b64 s[54:55], 0
                                        ; implicit-def: $sgpr56_sgpr57
                                        ; implicit-def: $sgpr58_sgpr59
	s_branch .LBB6_428
.LBB6_427:                              ;   in Loop: Header=BB6_428 Depth=5
	s_or_b64 exec, exec, s[62:63]
	s_and_b64 vcc, exec, vcc
	s_or_b64 s[54:55], vcc, s[54:55]
	s_andn2_b64 vcc, s[56:57], exec
	s_and_b64 s[56:57], s[58:59], exec
	s_or_b64 s[56:57], vcc, s[56:57]
	s_andn2_b64 exec, exec, s[54:55]
	s_cbranch_execz .LBB6_432
.LBB6_428:                              ;   Parent Loop BB6_53 Depth=1
                                        ;     Parent Loop BB6_90 Depth=2
                                        ;       Parent Loop BB6_266 Depth=3
                                        ;         Parent Loop BB6_394 Depth=4
                                        ; =>        This Inner Loop Header: Depth=5
	s_add_i32 s64, s64, 1
	s_cmpk_lg_i32 s64, 0x2710
	s_cselect_b64 s[60:61], -1, 0
	s_and_b64 vcc, exec, s[60:61]
                                        ; implicit-def: $sgpr62_sgpr63
	s_cbranch_vccnz .LBB6_430
; %bb.429:                              ;   in Loop: Header=BB6_428 Depth=5
	s_trap 2
	ds_read_b64 v[2:3], v0
	s_andn2_b64 s[60:61], s[60:61], exec
	s_mov_b32 s64, 0
	s_mov_b64 s[62:63], -1
	s_waitcnt lgkmcnt(0)
	flat_load_dword v0, v[2:3] glc
	s_waitcnt vmcnt(0) lgkmcnt(0)
	buffer_invl2
	buffer_wbinvl1_vol
	v_cmp_eq_u32_e32 vcc, 0, v0
	s_and_b64 vcc, vcc, exec
	s_or_b64 s[60:61], s[60:61], vcc
.LBB6_430:                              ;   in Loop: Header=BB6_428 Depth=5
	s_andn2_b64 s[58:59], s[58:59], exec
	s_and_b64 s[62:63], s[62:63], exec
	s_mov_b64 vcc, -1
	s_or_b64 s[58:59], s[58:59], s[62:63]
	s_and_saveexec_b64 s[62:63], s[60:61]
	s_cbranch_execz .LBB6_427
; %bb.431:                              ;   in Loop: Header=BB6_428 Depth=5
	s_sleep 1
	s_trap 2
	ds_read_b64 v[2:3], v0
	s_andn2_b64 s[58:59], s[58:59], exec
	s_waitcnt lgkmcnt(0)
	v_cmp_ge_u64_e32 vcc, v[2:3], v[10:11]
	s_orn2_b64 vcc, vcc, exec
	s_branch .LBB6_427
.LBB6_432:                              ;   in Loop: Header=BB6_394 Depth=4
	s_or_b64 exec, exec, s[54:55]
	s_and_saveexec_b64 vcc, s[56:57]
	s_xor_b64 vcc, exec, vcc
	s_cbranch_execz .LBB6_434
; %bb.433:                              ;   in Loop: Header=BB6_394 Depth=4
	ds_write_b32 v0, v58
	s_trap 2
.LBB6_434:                              ;   in Loop: Header=BB6_394 Depth=4
	s_or_b64 exec, exec, s[52:53]
	;;#ASMSTART
	s_wakeup
	;;#ASMEND
.LBB6_435:                              ;   in Loop: Header=BB6_394 Depth=4
	s_or_b64 exec, exec, s[50:51]
.LBB6_436:                              ;   in Loop: Header=BB6_394 Depth=4
	s_andn2_saveexec_b64 vcc, s[48:49]
	s_cbranch_execz .LBB6_438
; %bb.437:                              ;   in Loop: Header=BB6_394 Depth=4
	s_waitcnt vmcnt(0) lgkmcnt(0)
	buffer_wbinvl1_vol
	s_barrier
.LBB6_438:                              ;   in Loop: Header=BB6_394 Depth=4
	s_or_b64 exec, exec, vcc
.LBB6_439:                              ;   in Loop: Header=BB6_394 Depth=4
	s_or_b64 exec, exec, s[22:23]
	s_trap 2
	ds_read_b32 v0, v0
	v_cmp_lt_i32_e32 vcc, 0, v8
	v_and_b32_e32 v2, 16, v55
	s_waitcnt lgkmcnt(0)
	v_readfirstlane_b32 s22, v0
	s_cmp_eq_u32 s22, 0
	s_cselect_b64 s[22:23], -1, 0
	s_and_b64 s[22:23], vcc, s[22:23]
	v_cmp_ne_u32_e32 vcc, 0, v2
	s_and_b64 vcc, vcc, s[22:23]
	s_and_saveexec_b64 s[22:23], vcc
	s_cbranch_execz .LBB6_441
; %bb.440:                              ;   in Loop: Header=BB6_394 Depth=4
	s_waitcnt vmcnt(0)
	buffer_wbinvl1_vol
.LBB6_441:                              ;   in Loop: Header=BB6_394 Depth=4
	s_or_b64 exec, exec, s[22:23]
	v_cmp_ne_u32_e32 vcc, 0, v2
	s_xor_b64 s[22:23], s[18:19], -1
	s_and_b64 vcc, vcc, s[22:23]
	s_and_saveexec_b64 s[22:23], vcc
	s_cbranch_execz .LBB6_443
; %bb.442:                              ;   in Loop: Header=BB6_394 Depth=4
	flat_store_dword v[52:53], v58
.LBB6_443:                              ;   in Loop: Header=BB6_394 Depth=4
	s_or_b64 exec, exec, s[22:23]
	v_and_b32_e32 v0, 48, v55
	v_cmp_ne_u32_e32 vcc, 0, v0
	s_and_saveexec_b64 s[22:23], vcc
	s_cbranch_execz .LBB6_393
; %bb.444:                              ;   in Loop: Header=BB6_394 Depth=4
	v_add_co_u32_e32 v16, vcc, 2, v16
	v_addc_co_u32_e32 v17, vcc, 0, v17, vcc
	flat_store_dwordx2 v[18:19], v[16:17]
	s_branch .LBB6_393
.LBB6_445:                              ;   in Loop: Header=BB6_90 Depth=2
	v_accvgpr_read_b32 v8, a46
	v_accvgpr_read_b32 v9, a47
.LBB6_446:                              ;   in Loop: Header=BB6_90 Depth=2
	v_accvgpr_read_b32 v2, a48
	v_accvgpr_read_b32 v0, a43
	v_add_co_u32_e32 v39, vcc, v2, v0
	v_accvgpr_read_b32 v3, a49
	v_accvgpr_read_b32 v0, a44
	v_max_i32_e32 v28, 0, v39
	v_addc_co_u32_e32 v52, vcc, v3, v0, vcc
	v_add_u32_e32 v0, 31, v28
	v_lshrrev_b32_e32 v0, 1, v0
	v_and_b32_e32 v0, 0x3ffffff0, v0
	v_cmp_lt_i32_e32 vcc, 0, v39
	v_max_i32_e32 v53, s68, v0
	s_and_b64 s[22:23], s[36:37], vcc
	v_mov_b32_e32 v2, 0
	v_mov_b32_e32 v37, 0
	s_and_saveexec_b64 s[42:43], s[22:23]
	s_cbranch_execz .LBB6_565
; %bb.447:                              ;   in Loop: Header=BB6_90 Depth=2
	s_mov_b32 s64, 1
	s_mov_b64 s[46:47], -1
	s_mov_b64 s[44:45], 0
	v_mov_b32_e32 v37, 0
	s_branch .LBB6_449
.LBB6_448:                              ;   in Loop: Header=BB6_449 Depth=3
	s_or_b64 exec, exec, s[22:23]
	v_add_u32_e32 v37, v53, v37
	v_cmp_ge_i32_e32 vcc, v37, v28
	s_xor_b64 s[22:23], s[46:47], -1
	s_or_b64 s[22:23], s[22:23], vcc
	s_and_b64 s[22:23], exec, s[22:23]
	s_or_b64 s[44:45], s[22:23], s[44:45]
	s_mov_b64 s[46:47], 0
	v_mov_b32_e32 v2, s64
	s_mov_b32 s64, 2
	s_andn2_b64 exec, exec, s[44:45]
	s_cbranch_execz .LBB6_564
.LBB6_449:                              ;   Parent Loop BB6_53 Depth=1
                                        ;     Parent Loop BB6_90 Depth=2
                                        ; =>    This Loop Header: Depth=3
                                        ;         Child Loop BB6_459 Depth 4
                                        ;         Child Loop BB6_481 Depth 4
	;; [unrolled: 1-line block ×8, first 2 shown]
	s_and_saveexec_b64 s[22:23], s[4:5]
	s_cbranch_execz .LBB6_451
; %bb.450:                              ;   in Loop: Header=BB6_449 Depth=3
	s_trap 2
	ds_read_b128 v[2:5], v0
	v_ashrrev_i32_e32 v6, 31, v37
	s_waitcnt lgkmcnt(0)
	v_add_co_u32_e32 v0, vcc, v2, v39
	s_waitcnt vmcnt(0)
	v_addc_co_u32_e32 v1, vcc, v3, v52, vcc
	v_add_co_u32_e32 v2, vcc, v0, v37
	v_addc_co_u32_e32 v3, vcc, v1, v6, vcc
	ds_write_b64 v0, v[2:3]
	v_add_co_u32_e32 v0, vcc, v4, v39
	v_addc_co_u32_e32 v1, vcc, v5, v52, vcc
	v_add_co_u32_e32 v0, vcc, v0, v37
	v_addc_co_u32_e32 v1, vcc, v1, v6, vcc
	v_cmp_ne_u64_e32 vcc, 0, v[4:5]
	v_cndmask_b32_e32 v3, 0, v1, vcc
	v_cndmask_b32_e32 v2, 0, v0, vcc
	ds_write_b64 v0, v[2:3]
.LBB6_451:                              ;   in Loop: Header=BB6_449 Depth=3
	s_or_b64 exec, exec, s[22:23]
	v_and_b32_e32 v0, 4, v55
	v_cmp_ne_u32_e32 vcc, 0, v0
	s_mov_b64 s[48:49], -1
	s_and_saveexec_b64 s[22:23], vcc
	s_cbranch_execnz .LBB6_454
; %bb.452:                              ;   in Loop: Header=BB6_449 Depth=3
	s_or_b64 exec, exec, s[22:23]
	s_xor_b64 s[22:23], s[48:49], -1
	s_and_saveexec_b64 s[48:49], s[22:23]
	s_cbranch_execnz .LBB6_465
.LBB6_453:                              ;   in Loop: Header=BB6_449 Depth=3
	s_or_b64 exec, exec, s[48:49]
	s_and_saveexec_b64 s[22:23], s[6:7]
	s_cbranch_execnz .LBB6_474
	s_branch .LBB6_492
.LBB6_454:                              ;   in Loop: Header=BB6_449 Depth=3
	v_add_co_u32_e32 v8, vcc, 2, v16
	v_addc_co_u32_e32 v9, vcc, 0, v17, vcc
	v_cmp_lt_u64_e32 vcc, v[26:27], v[8:9]
	v_mov_b32_e32 v2, 1
	s_and_saveexec_b64 s[48:49], vcc
	s_cbranch_execz .LBB6_464
; %bb.455:                              ;   in Loop: Header=BB6_449 Depth=3
	s_mov_b64 s[50:51], 0
	v_mov_b32_e32 v2, 0
                                        ; implicit-def: $sgpr52_sgpr53
	s_branch .LBB6_459
.LBB6_456:                              ;   in Loop: Header=BB6_459 Depth=4
	s_or_b64 exec, exec, s[60:61]
	v_mov_b32_e32 v3, 0
	s_orn2_b64 s[58:59], s[58:59], exec
.LBB6_457:                              ;   in Loop: Header=BB6_459 Depth=4
	s_or_b64 exec, exec, s[56:57]
	s_andn2_b64 vcc, s[52:53], exec
	s_and_b64 s[52:53], s[58:59], exec
	s_or_b64 s[52:53], vcc, s[52:53]
	v_mov_b32_e32 v2, v3
.LBB6_458:                              ;   in Loop: Header=BB6_459 Depth=4
	s_or_b64 exec, exec, s[54:55]
	s_waitcnt vmcnt(0) lgkmcnt(0)
	v_cmp_ge_u64_e32 vcc, v[26:27], v[8:9]
	s_xor_b64 s[54:55], s[52:53], -1
	s_or_b64 vcc, s[54:55], vcc
	s_and_b64 vcc, exec, vcc
	s_or_b64 s[50:51], vcc, s[50:51]
	s_andn2_b64 exec, exec, s[50:51]
	s_cbranch_execz .LBB6_463
.LBB6_459:                              ;   Parent Loop BB6_53 Depth=1
                                        ;     Parent Loop BB6_90 Depth=2
                                        ;       Parent Loop BB6_449 Depth=3
                                        ; =>      This Inner Loop Header: Depth=4
	s_sleep 1
	flat_load_dwordx2 v[26:27], v[18:19] glc
	v_and_b32_e32 v0, 64, v55
	v_cmp_eq_u32_e32 vcc, 0, v0
	s_andn2_b64 s[52:53], s[52:53], exec
	s_and_saveexec_b64 s[54:55], vcc
	s_cbranch_execz .LBB6_458
; %bb.460:                              ;   in Loop: Header=BB6_459 Depth=4
	v_add_u32_e32 v3, 1, v2
	v_cmp_lt_i32_e32 vcc, s71, v2
	s_mov_b64 s[58:59], -1
	s_and_saveexec_b64 s[56:57], vcc
	s_cbranch_execz .LBB6_457
; %bb.461:                              ;   in Loop: Header=BB6_459 Depth=4
	s_trap 2
	ds_read_b64 v[2:3], v0
	s_waitcnt vmcnt(0) lgkmcnt(0)
	flat_load_dword v2, v[2:3] glc
	s_waitcnt vmcnt(0) lgkmcnt(0)
	buffer_invl2
	buffer_wbinvl1_vol
	v_cmp_ne_u32_e32 vcc, 0, v2
	s_and_saveexec_b64 s[60:61], vcc
	s_cbranch_execz .LBB6_456
; %bb.462:                              ;   in Loop: Header=BB6_459 Depth=4
	v_or_b32_e32 v55, 64, v55
	s_xor_b64 s[58:59], exec, -1
	ds_write_b32 v0, v2
	s_trap 2
	s_branch .LBB6_456
.LBB6_463:                              ;   in Loop: Header=BB6_449 Depth=3
	s_or_b64 exec, exec, s[50:51]
	v_and_b32_e32 v2, 4, v55
.LBB6_464:                              ;   in Loop: Header=BB6_449 Depth=3
	s_or_b64 exec, exec, s[48:49]
	v_cmp_eq_u32_e32 vcc, 0, v2
	v_accvgpr_read_b32 v8, a46
	s_orn2_b64 s[48:49], vcc, exec
	v_accvgpr_read_b32 v9, a47
	;;#ASMSTART
	s_wakeup
	;;#ASMEND
	s_or_b64 exec, exec, s[22:23]
	s_xor_b64 s[22:23], s[48:49], -1
	s_and_saveexec_b64 s[48:49], s[22:23]
	s_cbranch_execz .LBB6_453
.LBB6_465:                              ;   in Loop: Header=BB6_449 Depth=3
	v_and_b32_e32 v0, 0x100, v55
	v_cmp_ne_u32_e32 vcc, 0, v0
	v_and_b32_e32 v12, 7, v16
	s_mov_b64 s[22:23], -1
                                        ; implicit-def: $vgpr2_vgpr3
	s_and_saveexec_b64 s[50:51], vcc
	s_cbranch_execz .LBB6_469
; %bb.466:                              ;   in Loop: Header=BB6_449 Depth=3
	v_mad_u64_u32 v[8:9], s[22:23], v12, 24, v[22:23]
	flat_load_dword v0, v[8:9]
                                        ; implicit-def: $vgpr2_vgpr3
	s_waitcnt vmcnt(0) lgkmcnt(0)
	v_cmp_ne_u32_e32 vcc, 1, v0
	v_cmp_eq_u32_e64 s[22:23], 1, v0
	s_and_saveexec_b64 s[52:53], s[22:23]
	s_cbranch_execz .LBB6_468
; %bb.467:                              ;   in Loop: Header=BB6_449 Depth=3
	flat_load_dword v2, v[8:9] offset:4 glc
	s_waitcnt vmcnt(0) lgkmcnt(0)
	v_ashrrev_i32_e32 v3, 31, v2
.LBB6_468:                              ;   in Loop: Header=BB6_449 Depth=3
	s_or_b64 exec, exec, s[52:53]
	v_accvgpr_read_b32 v8, a46
	s_orn2_b64 s[22:23], vcc, exec
	v_accvgpr_read_b32 v9, a47
.LBB6_469:                              ;   in Loop: Header=BB6_449 Depth=3
	s_or_b64 exec, exec, s[50:51]
	s_and_saveexec_b64 vcc, s[22:23]
; %bb.470:                              ;   in Loop: Header=BB6_449 Depth=3
	v_mad_i64_i32 v[2:3], s[22:23], v12, v20, 0
; %bb.471:                              ;   in Loop: Header=BB6_449 Depth=3
	s_or_b64 exec, exec, vcc
	v_add_co_u32_e32 v2, vcc, v24, v2
	v_addc_co_u32_e32 v3, vcc, v25, v3, vcc
	ds_write_b64 v0, v[2:3] offset:720
	v_and_b32_e32 v0, 0x2000, v55
	v_cmp_ne_u32_e32 vcc, 0, v0
	s_and_saveexec_b64 s[22:23], vcc
	s_cbranch_execz .LBB6_473
; %bb.472:                              ;   in Loop: Header=BB6_449 Depth=3
	ds_read_b64 v[2:3], v0 offset:584
	s_waitcnt lgkmcnt(0)
	v_add_co_u32_e32 v2, vcc, 1, v2
	v_addc_co_u32_e32 v3, vcc, 0, v3, vcc
	ds_write_b64 v0, v[2:3] offset:584
.LBB6_473:                              ;   in Loop: Header=BB6_449 Depth=3
	s_or_b64 exec, exec, s[22:23]
	v_add_co_u32_e32 v16, vcc, 2, v16
	v_addc_co_u32_e32 v17, vcc, 0, v17, vcc
	s_or_b64 exec, exec, s[48:49]
	s_and_saveexec_b64 s[22:23], s[6:7]
	s_cbranch_execz .LBB6_492
.LBB6_474:                              ;   in Loop: Header=BB6_449 Depth=3
	s_and_saveexec_b64 vcc, s[34:35]
	s_xor_b64 s[48:49], exec, vcc
	s_cbranch_execz .LBB6_489
; %bb.475:                              ;   in Loop: Header=BB6_449 Depth=3
	s_and_saveexec_b64 s[50:51], s[12:13]
	s_cbranch_execz .LBB6_488
; %bb.476:                              ;   in Loop: Header=BB6_449 Depth=3
	s_mov_b64 s[54:55], exec
	v_mbcnt_lo_u32_b32 v0, s54, 0
	v_mbcnt_hi_u32_b32 v0, s55, v0
	v_cmp_eq_u32_e32 vcc, 0, v0
	s_waitcnt vmcnt(0) lgkmcnt(0)
	buffer_wbinvl1_vol
	s_and_saveexec_b64 s[52:53], vcc
	s_cbranch_execz .LBB6_478
; %bb.477:                              ;   in Loop: Header=BB6_449 Depth=3
	s_bcnt1_i32_b64 vcc_lo, s[54:55]
	v_mov_b32_e32 v2, vcc_lo
	v_mov_b32_e32 v3, v38
	ds_add_u64 v0, v[2:3]
	s_trap 2
.LBB6_478:                              ;   in Loop: Header=BB6_449 Depth=3
	s_or_b64 exec, exec, s[52:53]
	s_trap 2
	ds_read_b64 v[2:3], v0
	v_add_co_u32_e32 v10, vcc, v10, v50
	v_addc_co_u32_e32 v11, vcc, 0, v11, vcc
	s_waitcnt lgkmcnt(0)
	v_cmp_lt_u64_e32 vcc, v[2:3], v[10:11]
	s_and_saveexec_b64 s[52:53], vcc
	s_cbranch_execz .LBB6_487
; %bb.479:                              ;   in Loop: Header=BB6_449 Depth=3
	s_mov_b32 s65, 0
	s_mov_b64 s[54:55], 0
                                        ; implicit-def: $sgpr56_sgpr57
                                        ; implicit-def: $sgpr58_sgpr59
	s_branch .LBB6_481
.LBB6_480:                              ;   in Loop: Header=BB6_481 Depth=4
	s_or_b64 exec, exec, s[62:63]
	s_and_b64 vcc, exec, vcc
	s_or_b64 s[54:55], vcc, s[54:55]
	s_andn2_b64 vcc, s[56:57], exec
	s_and_b64 s[56:57], s[58:59], exec
	s_or_b64 s[56:57], vcc, s[56:57]
	s_andn2_b64 exec, exec, s[54:55]
	s_cbranch_execz .LBB6_485
.LBB6_481:                              ;   Parent Loop BB6_53 Depth=1
                                        ;     Parent Loop BB6_90 Depth=2
                                        ;       Parent Loop BB6_449 Depth=3
                                        ; =>      This Inner Loop Header: Depth=4
	s_add_i32 s65, s65, 1
	s_cmpk_lg_i32 s65, 0x2710
	s_cselect_b64 s[60:61], -1, 0
	s_and_b64 vcc, exec, s[60:61]
                                        ; implicit-def: $sgpr62_sgpr63
	s_cbranch_vccnz .LBB6_483
; %bb.482:                              ;   in Loop: Header=BB6_481 Depth=4
	s_trap 2
	ds_read_b64 v[2:3], v0
	s_andn2_b64 s[60:61], s[60:61], exec
	s_mov_b32 s65, 0
	s_mov_b64 s[62:63], -1
	s_waitcnt lgkmcnt(0)
	flat_load_dword v0, v[2:3] glc
	s_waitcnt vmcnt(0) lgkmcnt(0)
	buffer_invl2
	buffer_wbinvl1_vol
	v_cmp_eq_u32_e32 vcc, 0, v0
	s_and_b64 vcc, vcc, exec
	s_or_b64 s[60:61], s[60:61], vcc
.LBB6_483:                              ;   in Loop: Header=BB6_481 Depth=4
	s_andn2_b64 s[58:59], s[58:59], exec
	s_and_b64 s[62:63], s[62:63], exec
	s_mov_b64 vcc, -1
	s_or_b64 s[58:59], s[58:59], s[62:63]
	s_and_saveexec_b64 s[62:63], s[60:61]
	s_cbranch_execz .LBB6_480
; %bb.484:                              ;   in Loop: Header=BB6_481 Depth=4
	s_sleep 1
	s_trap 2
	ds_read_b64 v[2:3], v0
	s_andn2_b64 s[58:59], s[58:59], exec
	s_waitcnt lgkmcnt(0)
	v_cmp_ge_u64_e32 vcc, v[2:3], v[10:11]
	s_orn2_b64 vcc, vcc, exec
	s_branch .LBB6_480
.LBB6_485:                              ;   in Loop: Header=BB6_449 Depth=3
	s_or_b64 exec, exec, s[54:55]
	s_and_saveexec_b64 vcc, s[56:57]
	s_xor_b64 vcc, exec, vcc
	s_cbranch_execz .LBB6_487
; %bb.486:                              ;   in Loop: Header=BB6_449 Depth=3
	ds_write_b32 v0, v58
	s_trap 2
.LBB6_487:                              ;   in Loop: Header=BB6_449 Depth=3
	s_or_b64 exec, exec, s[52:53]
	;;#ASMSTART
	s_wakeup
	;;#ASMEND
.LBB6_488:                              ;   in Loop: Header=BB6_449 Depth=3
	s_or_b64 exec, exec, s[50:51]
.LBB6_489:                              ;   in Loop: Header=BB6_449 Depth=3
	s_andn2_saveexec_b64 vcc, s[48:49]
	s_cbranch_execz .LBB6_491
; %bb.490:                              ;   in Loop: Header=BB6_449 Depth=3
	s_waitcnt vmcnt(0) lgkmcnt(0)
	buffer_wbinvl1_vol
	s_barrier
.LBB6_491:                              ;   in Loop: Header=BB6_449 Depth=3
	s_or_b64 exec, exec, vcc
.LBB6_492:                              ;   in Loop: Header=BB6_449 Depth=3
	s_or_b64 exec, exec, s[22:23]
	s_trap 2
	ds_read_b32 v2, v0
	v_and_b32_e32 v0, 0x4000, v55
	v_cmp_ne_u32_e32 vcc, 0, v0
	s_xor_b64 s[22:23], s[16:17], -1
	s_and_b64 vcc, s[22:23], vcc
	s_and_saveexec_b64 s[22:23], vcc
	s_cbranch_execz .LBB6_511
; %bb.493:                              ;   in Loop: Header=BB6_449 Depth=3
	s_and_saveexec_b64 vcc, s[34:35]
	s_xor_b64 s[48:49], exec, vcc
	s_cbranch_execz .LBB6_508
; %bb.494:                              ;   in Loop: Header=BB6_449 Depth=3
	s_and_saveexec_b64 s[50:51], s[12:13]
	s_cbranch_execz .LBB6_507
; %bb.495:                              ;   in Loop: Header=BB6_449 Depth=3
	s_mov_b64 s[54:55], exec
	v_mbcnt_lo_u32_b32 v0, s54, 0
	v_mbcnt_hi_u32_b32 v0, s55, v0
	v_cmp_eq_u32_e32 vcc, 0, v0
	s_waitcnt vmcnt(0) lgkmcnt(0)
	buffer_wbinvl1_vol
	s_and_saveexec_b64 s[52:53], vcc
	s_cbranch_execz .LBB6_497
; %bb.496:                              ;   in Loop: Header=BB6_449 Depth=3
	s_bcnt1_i32_b64 vcc_lo, s[54:55]
	v_mov_b32_e32 v4, vcc_lo
	v_mov_b32_e32 v5, v38
	ds_add_u64 v0, v[4:5]
	s_trap 2
.LBB6_497:                              ;   in Loop: Header=BB6_449 Depth=3
	s_or_b64 exec, exec, s[52:53]
	s_trap 2
	ds_read_b64 v[4:5], v0
	v_add_co_u32_e32 v10, vcc, v10, v50
	v_addc_co_u32_e32 v11, vcc, 0, v11, vcc
	s_waitcnt lgkmcnt(0)
	v_cmp_lt_u64_e32 vcc, v[4:5], v[10:11]
	s_and_saveexec_b64 s[52:53], vcc
	s_cbranch_execz .LBB6_506
; %bb.498:                              ;   in Loop: Header=BB6_449 Depth=3
	s_mov_b32 s65, 0
	s_mov_b64 s[54:55], 0
                                        ; implicit-def: $sgpr56_sgpr57
                                        ; implicit-def: $sgpr58_sgpr59
	s_branch .LBB6_500
.LBB6_499:                              ;   in Loop: Header=BB6_500 Depth=4
	s_or_b64 exec, exec, s[62:63]
	s_and_b64 vcc, exec, vcc
	s_or_b64 s[54:55], vcc, s[54:55]
	s_andn2_b64 vcc, s[56:57], exec
	s_and_b64 s[56:57], s[58:59], exec
	s_or_b64 s[56:57], vcc, s[56:57]
	s_andn2_b64 exec, exec, s[54:55]
	s_cbranch_execz .LBB6_504
.LBB6_500:                              ;   Parent Loop BB6_53 Depth=1
                                        ;     Parent Loop BB6_90 Depth=2
                                        ;       Parent Loop BB6_449 Depth=3
                                        ; =>      This Inner Loop Header: Depth=4
	s_add_i32 s65, s65, 1
	s_cmpk_lg_i32 s65, 0x2710
	s_cselect_b64 s[60:61], -1, 0
	s_and_b64 vcc, exec, s[60:61]
                                        ; implicit-def: $sgpr62_sgpr63
	s_cbranch_vccnz .LBB6_502
; %bb.501:                              ;   in Loop: Header=BB6_500 Depth=4
	s_trap 2
	ds_read_b64 v[4:5], v0
	s_andn2_b64 s[60:61], s[60:61], exec
	s_mov_b32 s65, 0
	s_mov_b64 s[62:63], -1
	s_waitcnt lgkmcnt(0)
	flat_load_dword v0, v[4:5] glc
	s_waitcnt vmcnt(0) lgkmcnt(0)
	buffer_invl2
	buffer_wbinvl1_vol
	v_cmp_eq_u32_e32 vcc, 0, v0
	s_and_b64 vcc, vcc, exec
	s_or_b64 s[60:61], s[60:61], vcc
.LBB6_502:                              ;   in Loop: Header=BB6_500 Depth=4
	s_andn2_b64 s[58:59], s[58:59], exec
	s_and_b64 s[62:63], s[62:63], exec
	s_mov_b64 vcc, -1
	s_or_b64 s[58:59], s[58:59], s[62:63]
	s_and_saveexec_b64 s[62:63], s[60:61]
	s_cbranch_execz .LBB6_499
; %bb.503:                              ;   in Loop: Header=BB6_500 Depth=4
	s_sleep 1
	s_trap 2
	ds_read_b64 v[4:5], v0
	s_andn2_b64 s[58:59], s[58:59], exec
	s_waitcnt lgkmcnt(0)
	v_cmp_ge_u64_e32 vcc, v[4:5], v[10:11]
	s_orn2_b64 vcc, vcc, exec
	s_branch .LBB6_499
.LBB6_504:                              ;   in Loop: Header=BB6_449 Depth=3
	s_or_b64 exec, exec, s[54:55]
	s_and_saveexec_b64 vcc, s[56:57]
	s_xor_b64 vcc, exec, vcc
	s_cbranch_execz .LBB6_506
; %bb.505:                              ;   in Loop: Header=BB6_449 Depth=3
	ds_write_b32 v0, v58
	s_trap 2
.LBB6_506:                              ;   in Loop: Header=BB6_449 Depth=3
	s_or_b64 exec, exec, s[52:53]
	;;#ASMSTART
	s_wakeup
	;;#ASMEND
.LBB6_507:                              ;   in Loop: Header=BB6_449 Depth=3
	s_or_b64 exec, exec, s[50:51]
.LBB6_508:                              ;   in Loop: Header=BB6_449 Depth=3
	s_andn2_saveexec_b64 vcc, s[48:49]
	s_cbranch_execz .LBB6_510
; %bb.509:                              ;   in Loop: Header=BB6_449 Depth=3
	s_waitcnt vmcnt(0) lgkmcnt(0)
	buffer_wbinvl1_vol
	s_barrier
.LBB6_510:                              ;   in Loop: Header=BB6_449 Depth=3
	s_or_b64 exec, exec, vcc
.LBB6_511:                              ;   in Loop: Header=BB6_449 Depth=3
	s_or_b64 exec, exec, s[22:23]
	s_trap 2
	ds_read_b64 v[4:5], v0
	v_sub_u32_e32 v0, v28, v37
	v_min_i32_e32 v53, v53, v0
	v_mov_b32_e32 v40, 0
	s_waitcnt lgkmcnt(0)
	v_readfirstlane_b32 s22, v4
	v_readfirstlane_b32 s23, v5
	s_cmp_eq_u64 s[22:23], 0
	s_cselect_b64 s[22:23], -1, 0
	s_or_b64 s[22:23], s[22:23], s[22:23]
	s_and_b64 vcc, exec, s[22:23]
	s_cbranch_vccnz .LBB6_541
; %bb.512:                              ;   in Loop: Header=BB6_449 Depth=3
	s_mov_b64 s[22:23], -1
	s_and_saveexec_b64 s[48:49], s[14:15]
	s_cbranch_execz .LBB6_514
; %bb.513:                              ;   in Loop: Header=BB6_449 Depth=3
	ds_read_b32 v0, v0 offset:720
	s_waitcnt lgkmcnt(0)
	v_and_b32_e32 v0, 15, v0
	v_cmp_eq_u32_e32 vcc, 0, v0
	s_orn2_b64 s[22:23], vcc, exec
.LBB6_514:                              ;   in Loop: Header=BB6_449 Depth=3
	s_or_b64 exec, exec, s[48:49]
	s_and_saveexec_b64 s[48:49], s[10:11]
	s_cbranch_execz .LBB6_516
; %bb.515:                              ;   in Loop: Header=BB6_449 Depth=3
	ds_read_b32 v0, v0 offset:784
	s_waitcnt lgkmcnt(0)
	v_and_b32_e32 v0, 15, v0
	v_cmp_eq_u32_e32 vcc, 0, v0
	s_and_b64 vcc, s[22:23], vcc
	s_andn2_b64 s[22:23], s[22:23], exec
	s_and_b64 vcc, vcc, exec
	s_or_b64 s[22:23], s[22:23], vcc
.LBB6_516:                              ;   in Loop: Header=BB6_449 Depth=3
	s_or_b64 exec, exec, s[48:49]
	v_cmp_eq_u32_e32 vcc, 0, v2
	s_xor_b64 s[22:23], s[22:23], -1
	v_cndmask_b32_e32 v40, 0, v53, vcc
	v_cndmask_b32_e64 v0, 0, 1, s[22:23]
	v_mov_b32_e32 v4, 0
	s_mov_b64 s[50:51], -1
	;;#ASMSTART
	;;#ASMEND
	v_cmp_ne_u32_e32 vcc, 0, v0
	v_mov_b32_e32 v42, v40
	v_mov_b32_e32 v43, v36
	;; [unrolled: 1-line block ×3, first 2 shown]
	s_cbranch_vccz .LBB6_518
; %bb.517:                              ;   in Loop: Header=BB6_449 Depth=3
	s_and_saveexec_b64 s[22:23], s[50:51]
	s_cbranch_execnz .LBB6_531
	s_branch .LBB6_540
.LBB6_518:                              ;   in Loop: Header=BB6_449 Depth=3
	v_ashrrev_i32_e32 v0, 31, v40
	v_lshrrev_b32_e32 v0, 20, v0
	v_add_u32_e32 v0, v40, v0
	v_ashrrev_i32_e32 v12, 12, v0
	v_sub_u32_e32 v13, v12, v48
	v_cmp_lt_i32_e32 vcc, 0, v13
	s_and_saveexec_b64 s[22:23], vcc
	s_cbranch_execz .LBB6_522
; %bb.519:                              ;   in Loop: Header=BB6_449 Depth=3
	s_trap 2
	ds_read_b64 v[2:3], v0
	s_mov_b64 s[48:49], 0
	s_waitcnt lgkmcnt(0)
	v_pk_mov_b32 v[8:9], v[2:3], v[2:3] op_sel:[0,1]
.LBB6_520:                              ;   Parent Loop BB6_53 Depth=1
                                        ;     Parent Loop BB6_90 Depth=2
                                        ;       Parent Loop BB6_449 Depth=3
                                        ; =>      This Inner Loop Header: Depth=4
	v_add_co_u32_e32 v14, vcc, v54, v8
	v_addc_co_u32_e32 v15, vcc, v21, v9, vcc
	global_load_dwordx4 v[4:7], v[14:15], off glc slc
	global_load_dwordx4 v[58:61], v[14:15], off offset:1024 glc slc
	global_load_dwordx4 v[42:45], v[14:15], off offset:2048 glc slc
	;; [unrolled: 1-line block ×3, first 2 shown]
	buffer_load_dword v0, off, s[0:3], s33 offset:180 ; 4-byte Folded Reload
	buffer_load_dword v1, off, s[0:3], s33 offset:184 ; 4-byte Folded Reload
	v_sub_u32_e32 v13, v13, v50
	s_waitcnt vmcnt(0)
	v_add_co_u32_e32 v14, vcc, v0, v2
	buffer_load_dword v0, off, s[0:3], s33 offset:188 ; 4-byte Folded Reload
	buffer_load_dword v1, off, s[0:3], s33 offset:192 ; 4-byte Folded Reload
	s_waitcnt vmcnt(0)
	v_addc_co_u32_e32 v15, vcc, v1, v3, vcc
	global_store_dwordx4 v[14:15], v[4:7], off glc slc
	global_store_dwordx4 v[14:15], v[58:61], off offset:1024 glc slc
	buffer_load_dword v0, off, s[0:3], s33 offset:188 ; 4-byte Folded Reload
	buffer_load_dword v1, off, s[0:3], s33 offset:192 ; 4-byte Folded Reload
	v_add_co_u32_e32 v8, vcc, v8, v29
	global_store_dwordx4 v[14:15], v[42:45], off offset:2048 glc slc
	v_addc_co_u32_e32 v9, vcc, v9, v62, vcc
	v_add_co_u32_e32 v2, vcc, v2, v29
	v_addc_co_u32_e32 v3, vcc, v3, v62, vcc
	v_cmp_gt_i32_e32 vcc, 1, v13
	s_or_b64 s[48:49], vcc, s[48:49]
	s_waitcnt vmcnt(1)
	v_mov_b32_e32 v21, v1
	buffer_load_dword v0, off, s[0:3], s33 offset:180 ; 4-byte Folded Reload
	buffer_load_dword v1, off, s[0:3], s33 offset:184 ; 4-byte Folded Reload
	s_waitcnt vmcnt(1)
	v_mov_b32_e32 v54, v0
	global_store_dwordx4 v[14:15], v[32:35], off offset:3072 glc slc
	s_andn2_b64 exec, exec, s[48:49]
	s_cbranch_execnz .LBB6_520
; %bb.521:                              ;   in Loop: Header=BB6_449 Depth=3
	s_or_b64 exec, exec, s[48:49]
	v_accvgpr_read_b32 v23, a13
	v_accvgpr_read_b32 v8, a46
	;; [unrolled: 1-line block ×6, first 2 shown]
	v_mov_b32_e32 v58, 1
	v_accvgpr_read_b32 v9, a47
.LBB6_522:                              ;   in Loop: Header=BB6_449 Depth=3
	s_or_b64 exec, exec, s[22:23]
	v_lshlrev_b32_e32 v12, 12, v12
	v_cmp_ne_u32_e32 vcc, v40, v12
	s_mov_b64 s[50:51], 0
	v_mov_b32_e32 v4, 0
                                        ; implicit-def: $vgpr42
                                        ; implicit-def: $vgpr43
                                        ; implicit-def: $vgpr2
	s_and_saveexec_b64 s[48:49], vcc
	s_cbranch_execz .LBB6_530
; %bb.523:                              ;   in Loop: Header=BB6_449 Depth=3
	s_waitcnt vmcnt(0)
	v_lshlrev_b32_e32 v1, 6, v13
	v_accvgpr_read_b32 v2, a15
	v_sub_u32_e32 v1, v2, v1
	v_ashrrev_i32_e32 v2, 31, v1
	v_lshrrev_b32_e32 v2, 26, v2
	v_add_u32_e32 v2, v1, v2
	v_ashrrev_i32_e32 v3, 6, v2
	v_and_b32_e32 v2, 0xffffffc0, v2
	v_sub_u32_e32 v13, v1, v2
	v_sub_u32_e32 v0, v40, v12
	v_lshlrev_b32_e32 v1, 4, v13
	v_lshl_add_u32 v8, v3, 10, v1
	v_ashrrev_i32_e32 v1, 31, v0
	v_lshrrev_b32_e32 v1, 22, v1
	v_add_u32_e32 v1, v0, v1
	v_and_b32_e32 v14, 0xfffffc00, v1
	v_sub_u32_e32 v46, v0, v14
	v_ashrrev_i32_e32 v2, 10, v1
	v_cmp_lt_i32_e32 vcc, 15, v46
	v_sub_u32_e32 v41, v0, v8
	v_addc_co_u32_e64 v0, s[22:23], 0, v2, vcc
	v_sub_u32_e32 v15, v0, v3
	v_cmp_lt_i32_e64 s[22:23], 15, v41
	s_mov_b64 s[50:51], exec
	s_and_b64 s[22:23], s[50:51], s[22:23]
	v_accvgpr_read_b32 v0, a32
	s_mov_b64 exec, s[22:23]
	s_cbranch_execz .LBB6_527
; %bb.524:                              ;   in Loop: Header=BB6_449 Depth=3
	s_trap 2
	ds_read_b64 v[2:3], v0
	v_add_u32_e32 v8, v8, v12
	v_ashrrev_i32_e32 v9, 31, v8
	s_mov_b64 s[52:53], 0
.LBB6_525:                              ;   Parent Loop BB6_53 Depth=1
                                        ;     Parent Loop BB6_90 Depth=2
                                        ;       Parent Loop BB6_449 Depth=3
                                        ; =>      This Inner Loop Header: Depth=4
	s_waitcnt lgkmcnt(0)
	v_add_co_u32_e64 v32, s[22:23], v2, v8
	v_addc_co_u32_e64 v33, s[22:23], v3, v9, s[22:23]
	global_load_dwordx4 v[4:7], v[32:33], off glc slc
	v_add_co_u32_e64 v8, s[22:23], v8, v51
	v_sub_u32_e32 v41, v41, v0
	v_addc_co_u32_e64 v9, s[22:23], v9, v57, s[22:23]
	v_cmp_gt_i32_e64 s[22:23], 16, v41
	v_sub_u32_e32 v15, v15, v50
	s_or_b64 s[52:53], s[22:23], s[52:53]
	s_waitcnt vmcnt(0)
	global_store_dwordx4 v[32:33], v[4:7], off glc slc
	s_andn2_b64 exec, exec, s[52:53]
	s_cbranch_execnz .LBB6_525
; %bb.526:                              ;   in Loop: Header=BB6_449 Depth=3
	s_or_b64 exec, exec, s[52:53]
.LBB6_527:                              ;   in Loop: Header=BB6_449 Depth=3
	s_or_b64 exec, exec, s[50:51]
	v_and_b32_e32 v3, 15, v40
	v_cndmask_b32_e32 v42, v46, v3, vcc
	s_mov_b64 s[50:51], 0
	v_mov_b32_e32 v4, 0
	v_cmp_ne_u32_e64 s[22:23], 0, v42
                                        ; implicit-def: $vgpr43
                                        ; implicit-def: $vgpr2
	s_mov_b64 s[52:53], exec
	v_accvgpr_read_b32 v8, a46
	s_and_b64 s[22:23], s[52:53], s[22:23]
	v_accvgpr_read_b32 v9, a47
	s_mov_b64 exec, s[22:23]
	s_cbranch_execz .LBB6_529
; %bb.528:                              ;   in Loop: Header=BB6_449 Depth=3
	v_sub_u32_e32 v0, v46, v3
	v_cndmask_b32_e32 v0, 0, v0, vcc
	v_cmp_lt_i32_e32 vcc, 0, v15
	v_add3_u32 v4, v14, v12, v0
	v_cndmask_b32_e32 v0, 0, v50, vcc
	v_sub_u32_e32 v0, v0, v15
	v_lshl_add_u32 v43, v0, 6, v13
	v_ashrrev_i32_e32 v0, 31, v43
	v_lshrrev_b32_e32 v0, 26, v0
	v_add_u32_e32 v0, v43, v0
	s_mov_b64 s[50:51], exec
	v_ashrrev_i32_e32 v2, 6, v0
.LBB6_529:                              ;   in Loop: Header=BB6_449 Depth=3
	s_or_b64 exec, exec, s[52:53]
	s_and_b64 s[50:51], s[50:51], exec
.LBB6_530:                              ;   in Loop: Header=BB6_449 Depth=3
	s_or_b64 exec, exec, s[48:49]
	s_and_saveexec_b64 s[22:23], s[50:51]
	s_cbranch_execz .LBB6_540
.LBB6_531:                              ;   in Loop: Header=BB6_449 Depth=3
	v_ashrrev_i32_e32 v0, 31, v42
	v_lshrrev_b32_e32 v0, 21, v0
	v_add_u32_e32 v0, v42, v0
	s_waitcnt vmcnt(0)
	v_ashrrev_i32_e32 v1, 11, v0
	v_sub_u32_e32 v46, v1, v2
	v_ashrrev_i32_e32 v0, 31, v43
	v_cmp_lt_i32_e32 vcc, 0, v46
	v_lshrrev_b32_e32 v0, 26, v0
	s_and_saveexec_b64 s[48:49], vcc
	s_cbranch_execz .LBB6_535
; %bb.532:                              ;   in Loop: Header=BB6_449 Depth=3
	s_trap 2
	ds_read_b64 v[8:9], v0
	v_accvgpr_write_b32 a52, v0
	v_add_u32_e32 v0, v43, v0
	v_and_b32_e32 v0, 0xffffffc0, v0
	v_accvgpr_write_b32 a53, v1
	v_sub_u32_e32 v0, v43, v0
	v_lshlrev_b32_e32 v1, 11, v2
	v_add3_u32 v12, v4, v0, v1
	v_accvgpr_write_b32 a50, v52
	v_accvgpr_write_b32 a45, v39
	;; [unrolled: 1-line block ×5, first 2 shown]
	v_ashrrev_i32_e32 v13, 31, v12
	s_mov_b64 s[50:51], 0
	s_waitcnt lgkmcnt(0)
	v_pk_mov_b32 v[14:15], v[8:9], v[8:9] op_sel:[0,1]
.LBB6_533:                              ;   Parent Loop BB6_53 Depth=1
                                        ;     Parent Loop BB6_90 Depth=2
                                        ;       Parent Loop BB6_449 Depth=3
                                        ; =>      This Inner Loop Header: Depth=4
	v_add_co_u32_e32 v2, vcc, v12, v14
	v_addc_co_u32_e32 v3, vcc, v13, v15, vcc
	flat_load_ubyte v0, v[2:3] glc slc
	flat_load_ubyte v1, v[2:3] offset:64 glc slc
	flat_load_ubyte v4, v[2:3] offset:128 glc slc
	;; [unrolled: 1-line block ×31, first 2 shown]
	v_add_co_u32_e32 v2, vcc, v12, v8
	v_addc_co_u32_e32 v3, vcc, v13, v9, vcc
	v_add_co_u32_e32 v14, vcc, v14, v47
	v_addc_co_u32_e32 v15, vcc, v15, v56, vcc
	v_add_co_u32_e32 v8, vcc, v8, v47
	v_sub_u32_e32 v46, v46, v50
	v_addc_co_u32_e32 v9, vcc, v9, v56, vcc
	v_cmp_gt_i32_e32 vcc, 1, v46
	s_or_b64 s[50:51], vcc, s[50:51]
	s_waitcnt vmcnt(0) lgkmcnt(0)
	flat_store_byte v[2:3], v0 glc slc
	flat_store_byte v[2:3], v1 offset:64 glc slc
	flat_store_byte v[2:3], v4 offset:128 glc slc
	;; [unrolled: 1-line block ×31, first 2 shown]
	s_andn2_b64 exec, exec, s[50:51]
	s_cbranch_execnz .LBB6_533
; %bb.534:                              ;   in Loop: Header=BB6_449 Depth=3
	s_or_b64 exec, exec, s[50:51]
	buffer_load_dword v0, off, s[0:3], s33 offset:180 ; 4-byte Folded Reload
	buffer_load_dword v1, off, s[0:3], s33 offset:184 ; 4-byte Folded Reload
	v_accvgpr_read_b32 v23, a13
	v_accvgpr_read_b32 v25, a17
	;; [unrolled: 1-line block ×15, first 2 shown]
	v_mov_b32_e32 v58, 1
	v_accvgpr_read_b32 v28, a26
	v_accvgpr_read_b32 v39, a45
	;; [unrolled: 1-line block ×4, first 2 shown]
	s_waitcnt vmcnt(0)
	v_mov_b32_e32 v54, v0
	buffer_load_dword v0, off, s[0:3], s33 offset:188 ; 4-byte Folded Reload
	buffer_load_dword v1, off, s[0:3], s33 offset:192 ; 4-byte Folded Reload
	s_waitcnt vmcnt(0)
	v_accvgpr_read_b32 v0, a52
	v_mov_b32_e32 v21, v1
	v_accvgpr_read_b32 v1, a53
.LBB6_535:                              ;   in Loop: Header=BB6_449 Depth=3
	s_or_b64 exec, exec, s[48:49]
	v_lshlrev_b32_e32 v2, 11, v1
	v_cmp_ne_u32_e32 vcc, v42, v2
	s_and_saveexec_b64 s[48:49], vcc
	s_cbranch_execz .LBB6_539
; %bb.536:                              ;   in Loop: Header=BB6_449 Depth=3
	v_add_u32_e32 v0, v43, v0
	v_and_b32_e32 v0, 0xffffffc0, v0
	v_sub_u32_e32 v0, v43, v0
	v_lshlrev_b32_e32 v1, 6, v46
	v_sub_u32_e32 v0, v0, v1
	v_add_u32_e32 v8, v2, v0
	v_sub_u32_e32 v12, v42, v8
	v_cmp_lt_i32_e32 vcc, 0, v12
	s_and_b64 exec, exec, vcc
	s_cbranch_execz .LBB6_539
; %bb.537:                              ;   in Loop: Header=BB6_449 Depth=3
	s_trap 2
	ds_read_b64 v[2:3], v0
	v_add_u32_e32 v8, v8, v4
	v_ashrrev_i32_e32 v9, 31, v8
	s_mov_b64 s[50:51], 0
.LBB6_538:                              ;   Parent Loop BB6_53 Depth=1
                                        ;     Parent Loop BB6_90 Depth=2
                                        ;       Parent Loop BB6_449 Depth=3
                                        ; =>      This Inner Loop Header: Depth=4
	s_waitcnt lgkmcnt(0)
	v_add_co_u32_e32 v4, vcc, v2, v8
	v_addc_co_u32_e32 v5, vcc, v3, v9, vcc
	flat_load_ubyte v0, v[4:5] glc slc
	v_add_co_u32_e32 v8, vcc, v8, v44
	v_sub_u32_e32 v12, v12, v44
	v_addc_co_u32_e32 v9, vcc, v9, v45, vcc
	v_cmp_gt_i32_e32 vcc, 1, v12
	s_or_b64 s[50:51], vcc, s[50:51]
	s_waitcnt vmcnt(0) lgkmcnt(0)
	flat_store_byte v[4:5], v0 glc slc
	s_andn2_b64 exec, exec, s[50:51]
	s_cbranch_execnz .LBB6_538
.LBB6_539:                              ;   in Loop: Header=BB6_449 Depth=3
	s_or_b64 exec, exec, s[48:49]
	v_accvgpr_read_b32 v8, a46
	v_accvgpr_read_b32 v9, a47
.LBB6_540:                              ;   in Loop: Header=BB6_449 Depth=3
	s_or_b64 exec, exec, s[22:23]
.LBB6_541:                              ;   in Loop: Header=BB6_449 Depth=3
	s_and_saveexec_b64 s[22:23], s[6:7]
	s_cbranch_execz .LBB6_560
; %bb.542:                              ;   in Loop: Header=BB6_449 Depth=3
	s_and_saveexec_b64 vcc, s[34:35]
	s_xor_b64 s[48:49], exec, vcc
	s_cbranch_execz .LBB6_557
; %bb.543:                              ;   in Loop: Header=BB6_449 Depth=3
	s_and_saveexec_b64 s[50:51], s[12:13]
	s_cbranch_execz .LBB6_556
; %bb.544:                              ;   in Loop: Header=BB6_449 Depth=3
	s_mov_b64 s[54:55], exec
	v_mbcnt_lo_u32_b32 v0, s54, 0
	v_mbcnt_hi_u32_b32 v0, s55, v0
	v_cmp_eq_u32_e32 vcc, 0, v0
	s_waitcnt vmcnt(0) lgkmcnt(0)
	buffer_wbinvl1_vol
	s_and_saveexec_b64 s[52:53], vcc
	s_cbranch_execz .LBB6_546
; %bb.545:                              ;   in Loop: Header=BB6_449 Depth=3
	s_bcnt1_i32_b64 vcc_lo, s[54:55]
	v_mov_b32_e32 v2, vcc_lo
	v_mov_b32_e32 v3, v38
	ds_add_u64 v0, v[2:3]
	s_trap 2
.LBB6_546:                              ;   in Loop: Header=BB6_449 Depth=3
	s_or_b64 exec, exec, s[52:53]
	s_trap 2
	ds_read_b64 v[2:3], v0
	v_add_co_u32_e32 v10, vcc, v10, v50
	v_addc_co_u32_e32 v11, vcc, 0, v11, vcc
	s_waitcnt lgkmcnt(0)
	v_cmp_lt_u64_e32 vcc, v[2:3], v[10:11]
	s_and_saveexec_b64 s[52:53], vcc
	s_cbranch_execz .LBB6_555
; %bb.547:                              ;   in Loop: Header=BB6_449 Depth=3
	s_mov_b32 s65, 0
	s_mov_b64 s[54:55], 0
                                        ; implicit-def: $sgpr56_sgpr57
                                        ; implicit-def: $sgpr58_sgpr59
	s_branch .LBB6_549
.LBB6_548:                              ;   in Loop: Header=BB6_549 Depth=4
	s_or_b64 exec, exec, s[62:63]
	s_and_b64 vcc, exec, vcc
	s_or_b64 s[54:55], vcc, s[54:55]
	s_andn2_b64 vcc, s[56:57], exec
	s_and_b64 s[56:57], s[58:59], exec
	s_or_b64 s[56:57], vcc, s[56:57]
	s_andn2_b64 exec, exec, s[54:55]
	s_cbranch_execz .LBB6_553
.LBB6_549:                              ;   Parent Loop BB6_53 Depth=1
                                        ;     Parent Loop BB6_90 Depth=2
                                        ;       Parent Loop BB6_449 Depth=3
                                        ; =>      This Inner Loop Header: Depth=4
	s_add_i32 s65, s65, 1
	s_cmpk_lg_i32 s65, 0x2710
	s_cselect_b64 s[60:61], -1, 0
	s_and_b64 vcc, exec, s[60:61]
                                        ; implicit-def: $sgpr62_sgpr63
	s_cbranch_vccnz .LBB6_551
; %bb.550:                              ;   in Loop: Header=BB6_549 Depth=4
	s_trap 2
	ds_read_b64 v[2:3], v0
	s_andn2_b64 s[60:61], s[60:61], exec
	s_mov_b32 s65, 0
	s_mov_b64 s[62:63], -1
	s_waitcnt lgkmcnt(0)
	flat_load_dword v0, v[2:3] glc
	s_waitcnt vmcnt(0) lgkmcnt(0)
	buffer_invl2
	buffer_wbinvl1_vol
	v_cmp_eq_u32_e32 vcc, 0, v0
	s_and_b64 vcc, vcc, exec
	s_or_b64 s[60:61], s[60:61], vcc
.LBB6_551:                              ;   in Loop: Header=BB6_549 Depth=4
	s_andn2_b64 s[58:59], s[58:59], exec
	s_and_b64 s[62:63], s[62:63], exec
	s_mov_b64 vcc, -1
	s_or_b64 s[58:59], s[58:59], s[62:63]
	s_and_saveexec_b64 s[62:63], s[60:61]
	s_cbranch_execz .LBB6_548
; %bb.552:                              ;   in Loop: Header=BB6_549 Depth=4
	s_sleep 1
	s_trap 2
	ds_read_b64 v[2:3], v0
	s_andn2_b64 s[58:59], s[58:59], exec
	s_waitcnt lgkmcnt(0)
	v_cmp_ge_u64_e32 vcc, v[2:3], v[10:11]
	s_orn2_b64 vcc, vcc, exec
	s_branch .LBB6_548
.LBB6_553:                              ;   in Loop: Header=BB6_449 Depth=3
	s_or_b64 exec, exec, s[54:55]
	s_and_saveexec_b64 vcc, s[56:57]
	s_xor_b64 vcc, exec, vcc
	s_cbranch_execz .LBB6_555
; %bb.554:                              ;   in Loop: Header=BB6_449 Depth=3
	ds_write_b32 v0, v58
	s_trap 2
.LBB6_555:                              ;   in Loop: Header=BB6_449 Depth=3
	s_or_b64 exec, exec, s[52:53]
	;;#ASMSTART
	s_wakeup
	;;#ASMEND
.LBB6_556:                              ;   in Loop: Header=BB6_449 Depth=3
	s_or_b64 exec, exec, s[50:51]
.LBB6_557:                              ;   in Loop: Header=BB6_449 Depth=3
	s_andn2_saveexec_b64 vcc, s[48:49]
	s_cbranch_execz .LBB6_559
; %bb.558:                              ;   in Loop: Header=BB6_449 Depth=3
	s_waitcnt vmcnt(0) lgkmcnt(0)
	buffer_wbinvl1_vol
	s_barrier
.LBB6_559:                              ;   in Loop: Header=BB6_449 Depth=3
	s_or_b64 exec, exec, vcc
.LBB6_560:                              ;   in Loop: Header=BB6_449 Depth=3
	s_or_b64 exec, exec, s[22:23]
	v_and_b32_e32 v0, 16, v55
	v_cmp_lt_i32_e32 vcc, 0, v40
	v_cmp_ne_u32_e64 s[22:23], 0, v0
	s_and_b64 vcc, s[22:23], vcc
	s_and_saveexec_b64 s[22:23], vcc
	s_cbranch_execz .LBB6_562
; %bb.561:                              ;   in Loop: Header=BB6_449 Depth=3
	s_waitcnt vmcnt(0) lgkmcnt(0)
	buffer_wbinvl1_vol
.LBB6_562:                              ;   in Loop: Header=BB6_449 Depth=3
	s_or_b64 exec, exec, s[22:23]
	v_and_b32_e32 v0, 32, v55
	v_cmp_ne_u32_e32 vcc, 0, v0
	s_and_saveexec_b64 s[22:23], vcc
	s_cbranch_execz .LBB6_448
; %bb.563:                              ;   in Loop: Header=BB6_449 Depth=3
	v_add_co_u32_e32 v16, vcc, 2, v16
	v_addc_co_u32_e32 v17, vcc, 0, v17, vcc
	flat_store_dwordx2 v[18:19], v[16:17]
	s_branch .LBB6_448
.LBB6_564:                              ;   in Loop: Header=BB6_90 Depth=2
	s_or_b64 exec, exec, s[44:45]
.LBB6_565:                              ;   in Loop: Header=BB6_90 Depth=2
	s_or_b64 exec, exec, s[42:43]
	v_cmp_gt_i32_e32 vcc, 2, v2
	s_and_saveexec_b64 s[42:43], vcc
	s_cbranch_execz .LBB6_89
; %bb.566:                              ;   in Loop: Header=BB6_90 Depth=2
	v_cmp_eq_u32_e64 s[22:23], 0, v2
	s_mov_b64 s[44:45], 0
	s_branch .LBB6_568
.LBB6_567:                              ;   in Loop: Header=BB6_568 Depth=3
	s_or_b64 exec, exec, s[22:23]
	v_add_u32_e32 v37, v53, v37
	s_mov_b64 s[22:23], 0
	s_andn2_b64 exec, exec, s[44:45]
	s_cbranch_execz .LBB6_88
.LBB6_568:                              ;   Parent Loop BB6_53 Depth=1
                                        ;     Parent Loop BB6_90 Depth=2
                                        ; =>    This Loop Header: Depth=3
                                        ;         Child Loop BB6_574 Depth 4
                                        ;         Child Loop BB6_598 Depth 4
	v_and_b32_e32 v0, 4, v55
	s_mov_b64 s[48:49], -1
	v_cmp_ne_u32_e32 vcc, 0, v0
	s_and_saveexec_b64 s[46:47], vcc
	s_cbranch_execz .LBB6_580
; %bb.569:                              ;   in Loop: Header=BB6_568 Depth=3
	v_add_co_u32_e32 v8, vcc, 2, v16
	v_addc_co_u32_e32 v9, vcc, 0, v17, vcc
	v_cmp_lt_u64_e32 vcc, v[26:27], v[8:9]
	v_mov_b32_e32 v2, 1
	s_and_saveexec_b64 s[48:49], vcc
	s_cbranch_execz .LBB6_579
; %bb.570:                              ;   in Loop: Header=BB6_568 Depth=3
	s_mov_b64 s[50:51], 0
	v_mov_b32_e32 v2, 0
                                        ; implicit-def: $sgpr52_sgpr53
	s_branch .LBB6_574
.LBB6_571:                              ;   in Loop: Header=BB6_574 Depth=4
	s_or_b64 exec, exec, s[60:61]
	v_mov_b32_e32 v3, 0
	s_orn2_b64 s[58:59], s[58:59], exec
.LBB6_572:                              ;   in Loop: Header=BB6_574 Depth=4
	s_or_b64 exec, exec, s[56:57]
	s_andn2_b64 vcc, s[52:53], exec
	s_and_b64 s[52:53], s[58:59], exec
	s_or_b64 s[52:53], vcc, s[52:53]
	v_mov_b32_e32 v2, v3
.LBB6_573:                              ;   in Loop: Header=BB6_574 Depth=4
	s_or_b64 exec, exec, s[54:55]
	s_waitcnt vmcnt(0) lgkmcnt(0)
	v_cmp_ge_u64_e32 vcc, v[26:27], v[8:9]
	s_xor_b64 s[54:55], s[52:53], -1
	s_or_b64 vcc, s[54:55], vcc
	s_and_b64 vcc, exec, vcc
	s_or_b64 s[50:51], vcc, s[50:51]
	s_andn2_b64 exec, exec, s[50:51]
	s_cbranch_execz .LBB6_578
.LBB6_574:                              ;   Parent Loop BB6_53 Depth=1
                                        ;     Parent Loop BB6_90 Depth=2
                                        ;       Parent Loop BB6_568 Depth=3
                                        ; =>      This Inner Loop Header: Depth=4
	s_sleep 1
	flat_load_dwordx2 v[26:27], v[18:19] glc
	v_and_b32_e32 v0, 64, v55
	v_cmp_eq_u32_e32 vcc, 0, v0
	s_andn2_b64 s[52:53], s[52:53], exec
	s_and_saveexec_b64 s[54:55], vcc
	s_cbranch_execz .LBB6_573
; %bb.575:                              ;   in Loop: Header=BB6_574 Depth=4
	v_add_u32_e32 v3, 1, v2
	v_cmp_lt_i32_e32 vcc, s71, v2
	s_mov_b64 s[58:59], -1
	s_and_saveexec_b64 s[56:57], vcc
	s_cbranch_execz .LBB6_572
; %bb.576:                              ;   in Loop: Header=BB6_574 Depth=4
	s_trap 2
	ds_read_b64 v[2:3], v0
	s_waitcnt vmcnt(0) lgkmcnt(0)
	flat_load_dword v2, v[2:3] glc
	s_waitcnt vmcnt(0) lgkmcnt(0)
	buffer_invl2
	buffer_wbinvl1_vol
	v_cmp_ne_u32_e32 vcc, 0, v2
	s_and_saveexec_b64 s[60:61], vcc
	s_cbranch_execz .LBB6_571
; %bb.577:                              ;   in Loop: Header=BB6_574 Depth=4
	v_or_b32_e32 v55, 64, v55
	s_xor_b64 s[58:59], exec, -1
	ds_write_b32 v0, v2
	s_trap 2
	s_branch .LBB6_571
.LBB6_578:                              ;   in Loop: Header=BB6_568 Depth=3
	s_or_b64 exec, exec, s[50:51]
	v_and_b32_e32 v2, 4, v55
.LBB6_579:                              ;   in Loop: Header=BB6_568 Depth=3
	s_or_b64 exec, exec, s[48:49]
	v_cmp_eq_u32_e32 vcc, 0, v2
	v_accvgpr_read_b32 v8, a46
	s_orn2_b64 s[48:49], vcc, exec
	v_accvgpr_read_b32 v9, a47
	;;#ASMSTART
	s_wakeup
	;;#ASMEND
.LBB6_580:                              ;   in Loop: Header=BB6_568 Depth=3
	s_or_b64 exec, exec, s[46:47]
	s_xor_b64 s[22:23], s[22:23], -1
	s_and_b64 s[22:23], exec, s[22:23]
	s_or_b64 s[44:45], s[22:23], s[44:45]
	s_xor_b64 s[22:23], s[48:49], -1
	s_and_saveexec_b64 s[46:47], s[22:23]
	s_cbranch_execz .LBB6_590
; %bb.581:                              ;   in Loop: Header=BB6_568 Depth=3
	v_and_b32_e32 v0, 0x100, v55
	v_cmp_ne_u32_e32 vcc, 0, v0
	v_and_b32_e32 v12, 7, v16
	s_mov_b64 s[22:23], -1
                                        ; implicit-def: $vgpr2_vgpr3
	s_and_saveexec_b64 s[48:49], vcc
	s_cbranch_execz .LBB6_585
; %bb.582:                              ;   in Loop: Header=BB6_568 Depth=3
	v_mad_u64_u32 v[8:9], s[22:23], v12, 24, v[22:23]
	flat_load_dword v0, v[8:9]
                                        ; implicit-def: $vgpr2_vgpr3
	s_waitcnt vmcnt(0) lgkmcnt(0)
	v_cmp_ne_u32_e32 vcc, 1, v0
	v_cmp_eq_u32_e64 s[22:23], 1, v0
	s_and_saveexec_b64 s[50:51], s[22:23]
	s_cbranch_execz .LBB6_584
; %bb.583:                              ;   in Loop: Header=BB6_568 Depth=3
	flat_load_dword v2, v[8:9] offset:4 glc
	s_waitcnt vmcnt(0) lgkmcnt(0)
	v_ashrrev_i32_e32 v3, 31, v2
.LBB6_584:                              ;   in Loop: Header=BB6_568 Depth=3
	s_or_b64 exec, exec, s[50:51]
	v_accvgpr_read_b32 v8, a46
	s_orn2_b64 s[22:23], vcc, exec
	v_accvgpr_read_b32 v9, a47
.LBB6_585:                              ;   in Loop: Header=BB6_568 Depth=3
	s_or_b64 exec, exec, s[48:49]
	s_and_saveexec_b64 vcc, s[22:23]
; %bb.586:                              ;   in Loop: Header=BB6_568 Depth=3
	v_mad_i64_i32 v[2:3], s[22:23], v12, v20, 0
; %bb.587:                              ;   in Loop: Header=BB6_568 Depth=3
	s_or_b64 exec, exec, vcc
	v_add_co_u32_e32 v2, vcc, v24, v2
	v_addc_co_u32_e32 v3, vcc, v25, v3, vcc
	ds_write_b64 v0, v[2:3] offset:720
	v_and_b32_e32 v0, 0x2000, v55
	v_cmp_ne_u32_e32 vcc, 0, v0
	s_and_saveexec_b64 s[22:23], vcc
	s_cbranch_execz .LBB6_589
; %bb.588:                              ;   in Loop: Header=BB6_568 Depth=3
	ds_read_b64 v[2:3], v0 offset:584
	s_waitcnt lgkmcnt(0)
	v_add_co_u32_e32 v2, vcc, 1, v2
	v_addc_co_u32_e32 v3, vcc, 0, v3, vcc
	ds_write_b64 v0, v[2:3] offset:584
.LBB6_589:                              ;   in Loop: Header=BB6_568 Depth=3
	s_or_b64 exec, exec, s[22:23]
	v_add_co_u32_e32 v16, vcc, 2, v16
	v_addc_co_u32_e32 v17, vcc, 0, v17, vcc
.LBB6_590:                              ;   in Loop: Header=BB6_568 Depth=3
	s_or_b64 exec, exec, s[46:47]
	s_and_saveexec_b64 s[22:23], s[6:7]
	s_cbranch_execz .LBB6_609
; %bb.591:                              ;   in Loop: Header=BB6_568 Depth=3
	s_and_saveexec_b64 vcc, s[34:35]
	s_xor_b64 s[46:47], exec, vcc
	s_cbranch_execz .LBB6_606
; %bb.592:                              ;   in Loop: Header=BB6_568 Depth=3
	s_and_saveexec_b64 s[48:49], s[12:13]
	s_cbranch_execz .LBB6_605
; %bb.593:                              ;   in Loop: Header=BB6_568 Depth=3
	s_mov_b64 s[52:53], exec
	v_mbcnt_lo_u32_b32 v0, s52, 0
	v_mbcnt_hi_u32_b32 v0, s53, v0
	v_cmp_eq_u32_e32 vcc, 0, v0
	s_waitcnt vmcnt(0) lgkmcnt(0)
	buffer_wbinvl1_vol
	s_and_saveexec_b64 s[50:51], vcc
	s_cbranch_execz .LBB6_595
; %bb.594:                              ;   in Loop: Header=BB6_568 Depth=3
	s_bcnt1_i32_b64 vcc_lo, s[52:53]
	v_mov_b32_e32 v2, vcc_lo
	v_mov_b32_e32 v3, v38
	ds_add_u64 v0, v[2:3]
	s_trap 2
.LBB6_595:                              ;   in Loop: Header=BB6_568 Depth=3
	s_or_b64 exec, exec, s[50:51]
	s_trap 2
	ds_read_b64 v[2:3], v0
	v_add_co_u32_e32 v10, vcc, v10, v50
	v_addc_co_u32_e32 v11, vcc, 0, v11, vcc
	s_waitcnt lgkmcnt(0)
	v_cmp_lt_u64_e32 vcc, v[2:3], v[10:11]
	s_and_saveexec_b64 s[50:51], vcc
	s_cbranch_execz .LBB6_604
; %bb.596:                              ;   in Loop: Header=BB6_568 Depth=3
	s_mov_b32 s62, 0
	s_mov_b64 s[52:53], 0
                                        ; implicit-def: $sgpr54_sgpr55
                                        ; implicit-def: $sgpr56_sgpr57
	s_branch .LBB6_598
.LBB6_597:                              ;   in Loop: Header=BB6_598 Depth=4
	s_or_b64 exec, exec, s[60:61]
	s_and_b64 vcc, exec, vcc
	s_or_b64 s[52:53], vcc, s[52:53]
	s_andn2_b64 vcc, s[54:55], exec
	s_and_b64 s[54:55], s[56:57], exec
	s_or_b64 s[54:55], vcc, s[54:55]
	s_andn2_b64 exec, exec, s[52:53]
	s_cbranch_execz .LBB6_602
.LBB6_598:                              ;   Parent Loop BB6_53 Depth=1
                                        ;     Parent Loop BB6_90 Depth=2
                                        ;       Parent Loop BB6_568 Depth=3
                                        ; =>      This Inner Loop Header: Depth=4
	s_add_i32 s62, s62, 1
	s_cmpk_lg_i32 s62, 0x2710
	s_cselect_b64 s[58:59], -1, 0
	s_and_b64 vcc, exec, s[58:59]
                                        ; implicit-def: $sgpr60_sgpr61
	s_cbranch_vccnz .LBB6_600
; %bb.599:                              ;   in Loop: Header=BB6_598 Depth=4
	s_trap 2
	ds_read_b64 v[2:3], v0
	s_andn2_b64 s[58:59], s[58:59], exec
	s_mov_b32 s62, 0
	s_mov_b64 s[60:61], -1
	s_waitcnt lgkmcnt(0)
	flat_load_dword v0, v[2:3] glc
	s_waitcnt vmcnt(0) lgkmcnt(0)
	buffer_invl2
	buffer_wbinvl1_vol
	v_cmp_eq_u32_e32 vcc, 0, v0
	s_and_b64 vcc, vcc, exec
	s_or_b64 s[58:59], s[58:59], vcc
.LBB6_600:                              ;   in Loop: Header=BB6_598 Depth=4
	s_andn2_b64 s[56:57], s[56:57], exec
	s_and_b64 s[60:61], s[60:61], exec
	s_mov_b64 vcc, -1
	s_or_b64 s[56:57], s[56:57], s[60:61]
	s_and_saveexec_b64 s[60:61], s[58:59]
	s_cbranch_execz .LBB6_597
; %bb.601:                              ;   in Loop: Header=BB6_598 Depth=4
	s_sleep 1
	s_trap 2
	ds_read_b64 v[2:3], v0
	s_andn2_b64 s[56:57], s[56:57], exec
	s_waitcnt lgkmcnt(0)
	v_cmp_ge_u64_e32 vcc, v[2:3], v[10:11]
	s_orn2_b64 vcc, vcc, exec
	s_branch .LBB6_597
.LBB6_602:                              ;   in Loop: Header=BB6_568 Depth=3
	s_or_b64 exec, exec, s[52:53]
	s_and_saveexec_b64 vcc, s[54:55]
	s_xor_b64 vcc, exec, vcc
	s_cbranch_execz .LBB6_604
; %bb.603:                              ;   in Loop: Header=BB6_568 Depth=3
	ds_write_b32 v0, v58
	s_trap 2
.LBB6_604:                              ;   in Loop: Header=BB6_568 Depth=3
	s_or_b64 exec, exec, s[50:51]
	;;#ASMSTART
	s_wakeup
	;;#ASMEND
.LBB6_605:                              ;   in Loop: Header=BB6_568 Depth=3
	s_or_b64 exec, exec, s[48:49]
.LBB6_606:                              ;   in Loop: Header=BB6_568 Depth=3
	s_andn2_saveexec_b64 vcc, s[46:47]
	s_cbranch_execz .LBB6_608
; %bb.607:                              ;   in Loop: Header=BB6_568 Depth=3
	s_waitcnt vmcnt(0) lgkmcnt(0)
	buffer_wbinvl1_vol
	s_barrier
.LBB6_608:                              ;   in Loop: Header=BB6_568 Depth=3
	s_or_b64 exec, exec, vcc
.LBB6_609:                              ;   in Loop: Header=BB6_568 Depth=3
	s_or_b64 exec, exec, s[22:23]
	s_trap 2
	ds_read_b32 v0, v0
	s_waitcnt vmcnt(0)
	v_sub_u32_e32 v1, v28, v37
	v_min_i32_e32 v53, v53, v1
	v_cmp_lt_i32_e32 vcc, 0, v53
	s_waitcnt lgkmcnt(0)
	v_readfirstlane_b32 s22, v0
	s_cmp_eq_u32 s22, 0
	s_cselect_b64 s[22:23], -1, 0
	v_and_b32_e32 v0, 16, v55
	s_and_b64 s[22:23], vcc, s[22:23]
	v_cmp_ne_u32_e32 vcc, 0, v0
	s_and_b64 vcc, vcc, s[22:23]
	s_and_saveexec_b64 s[22:23], vcc
	s_cbranch_execz .LBB6_611
; %bb.610:                              ;   in Loop: Header=BB6_568 Depth=3
	buffer_wbinvl1_vol
.LBB6_611:                              ;   in Loop: Header=BB6_568 Depth=3
	s_or_b64 exec, exec, s[22:23]
	v_and_b32_e32 v0, 32, v55
	v_cmp_ne_u32_e32 vcc, 0, v0
	s_and_saveexec_b64 s[22:23], vcc
	s_cbranch_execz .LBB6_567
; %bb.612:                              ;   in Loop: Header=BB6_568 Depth=3
	v_add_co_u32_e32 v16, vcc, 2, v16
	v_addc_co_u32_e32 v17, vcc, 0, v17, vcc
	flat_store_dwordx2 v[18:19], v[16:17]
	s_branch .LBB6_567
.LBB6_613:                              ;   in Loop: Header=BB6_53 Depth=1
	s_or_b64 exec, exec, s[38:39]
	v_accvgpr_read_b32 v2, a0
.LBB6_614:                              ;   in Loop: Header=BB6_53 Depth=1
	s_or_b64 exec, exec, s[26:27]
.LBB6_615:                              ;   in Loop: Header=BB6_53 Depth=1
	s_or_b64 exec, exec, s[24:25]
	s_add_i32 s22, s30, 1
	s_cmp_eq_u32 s30, s67
	s_cbranch_scc1 .LBB6_618
; %bb.616:                              ;   in Loop: Header=BB6_53 Depth=1
	s_mov_b32 s30, s22
	s_branch .LBB6_53
.LBB6_617:
	v_mov_b32_e32 v2, v0
.LBB6_618:
	v_and_b32_e32 v0, 0x800, v55
	v_cmp_eq_u32_e32 vcc, 0, v0
	s_and_saveexec_b64 s[4:5], vcc
	s_cbranch_execz .LBB6_653
; %bb.619:
	v_and_b32_e32 v0, 48, v55
	v_cmp_ne_u32_e32 vcc, 0, v0
	s_and_saveexec_b64 s[6:7], vcc
	s_cbranch_execz .LBB6_621
; %bb.620:
	v_accvgpr_read_b32 v0, a10
	v_accvgpr_read_b32 v1, a11
	flat_store_dwordx2 v[0:1], v[16:17] offset:104
.LBB6_621:
	s_or_b64 exec, exec, s[6:7]
	s_movk_i32 s6, 0x88
	v_and_b32_e32 v0, 0x88, v55
	v_cmp_eq_u32_e32 vcc, s6, v0
	s_and_saveexec_b64 s[6:7], vcc
	s_cbranch_execz .LBB6_633
; %bb.622:
	v_add_u32_e32 v0, 6, v16
	v_and_b32_e32 v0, 7, v0
	v_mad_u64_u32 v[0:1], s[10:11], v0, 24, v[22:23]
	v_add_co_u32_e32 v2, vcc, 8, v0
	v_addc_co_u32_e32 v3, vcc, 0, v1, vcc
	s_mov_b64 s[10:11], 0
	v_mov_b32_e32 v0, 0
	s_movk_i32 s24, 0x270e
                                        ; implicit-def: $sgpr12_sgpr13
	s_branch .LBB6_627
.LBB6_623:                              ;   in Loop: Header=BB6_627 Depth=1
	s_or_b64 exec, exec, s[22:23]
	v_mov_b32_e32 v1, 0
	s_orn2_b64 s[20:21], s[20:21], exec
.LBB6_624:                              ;   in Loop: Header=BB6_627 Depth=1
	s_or_b64 exec, exec, s[18:19]
	s_and_b64 s[18:19], s[20:21], exec
	v_mov_b32_e32 v0, v1
.LBB6_625:                              ;   in Loop: Header=BB6_627 Depth=1
	s_or_b64 exec, exec, s[16:17]
	s_xor_b64 s[16:17], s[18:19], -1
	s_andn2_b64 s[12:13], s[12:13], exec
	s_and_b64 s[16:17], s[16:17], exec
	s_or_b64 s[12:13], s[12:13], s[16:17]
.LBB6_626:                              ;   in Loop: Header=BB6_627 Depth=1
	s_or_b64 exec, exec, s[14:15]
	s_and_b64 s[14:15], exec, s[12:13]
	s_or_b64 s[10:11], s[14:15], s[10:11]
	s_andn2_b64 exec, exec, s[10:11]
	s_cbranch_execz .LBB6_632
.LBB6_627:                              ; =>This Inner Loop Header: Depth=1
	flat_load_dwordx2 v[4:5], v[2:3] glc
	s_waitcnt vmcnt(0)
	s_or_b64 s[12:13], s[12:13], exec
	s_waitcnt lgkmcnt(0)
	v_cmp_ne_u64_e32 vcc, -1, v[4:5]
	s_and_saveexec_b64 s[14:15], vcc
	s_cbranch_execz .LBB6_626
; %bb.628:                              ;   in Loop: Header=BB6_627 Depth=1
	v_and_b32_e32 v1, 64, v55
	v_cmp_eq_u32_e32 vcc, 0, v1
	s_mov_b64 s[18:19], 0
	s_and_saveexec_b64 s[16:17], vcc
	s_cbranch_execz .LBB6_625
; %bb.629:                              ;   in Loop: Header=BB6_627 Depth=1
	v_add_u32_e32 v1, 1, v0
	v_cmp_lt_i32_e32 vcc, s24, v0
	s_mov_b64 s[20:21], -1
	s_and_saveexec_b64 s[18:19], vcc
	s_cbranch_execz .LBB6_624
; %bb.630:                              ;   in Loop: Header=BB6_627 Depth=1
	s_trap 2
	ds_read_b64 v[0:1], v0
	s_waitcnt lgkmcnt(0)
	flat_load_dword v0, v[0:1] glc
	s_waitcnt vmcnt(0) lgkmcnt(0)
	buffer_invl2
	buffer_wbinvl1_vol
	v_cmp_ne_u32_e32 vcc, 0, v0
	s_and_saveexec_b64 s[22:23], vcc
	s_cbranch_execz .LBB6_623
; %bb.631:                              ;   in Loop: Header=BB6_627 Depth=1
	v_or_b32_e32 v55, 64, v55
	s_xor_b64 s[20:21], exec, -1
	ds_write_b32 v0, v0
	s_trap 2
	s_branch .LBB6_623
.LBB6_632:
	s_or_b64 exec, exec, s[10:11]
	v_accvgpr_read_b32 v2, a0
.LBB6_633:
	s_or_b64 exec, exec, s[6:7]
	v_and_b32_e32 v0, 0x2000, v55
	v_cmp_ne_u32_e32 vcc, 0, v0
	s_and_saveexec_b64 s[6:7], vcc
	s_cbranch_execz .LBB6_635
; %bb.634:
	s_trap 2
	ds_read_b64 v[0:1], v0
	buffer_load_dword v4, off, s[0:3], s33 offset:200 ; 4-byte Folded Reload
	buffer_load_dword v5, off, s[0:3], s33 offset:204 ; 4-byte Folded Reload
	s_waitcnt vmcnt(0) lgkmcnt(0)
	flat_store_dwordx2 v[4:5], v[0:1] offset:16
.LBB6_635:
	s_or_b64 exec, exec, s[6:7]
	v_cmp_ne_u32_e32 vcc, 64, v2
	s_and_b64 exec, exec, vcc
	s_cbranch_execz .LBB6_653
; %bb.636:
	v_accvgpr_read_b32 v0, a7
	v_cmp_ne_u32_sdwa s[6:7], v0, v2 src0_sel:WORD_0 src1_sel:DWORD
	s_and_saveexec_b64 s[10:11], s[6:7]
	s_xor_b64 s[6:7], exec, s[10:11]
	s_cbranch_execz .LBB6_651
; %bb.637:
	v_accvgpr_read_b32 v0, a1
	v_and_b32_e32 v0, 63, v0
	v_cmp_eq_u32_e32 vcc, 0, v0
	s_and_saveexec_b64 s[10:11], vcc
	s_cbranch_execz .LBB6_650
; %bb.638:
	s_mov_b64 s[14:15], exec
	v_mbcnt_lo_u32_b32 v0, s14, 0
	v_mbcnt_hi_u32_b32 v0, s15, v0
	v_cmp_eq_u32_e32 vcc, 0, v0
	s_waitcnt vmcnt(0) lgkmcnt(0)
	buffer_wbinvl1_vol
	s_and_saveexec_b64 s[12:13], vcc
	s_cbranch_execz .LBB6_640
; %bb.639:
	s_bcnt1_i32_b64 s14, s[14:15]
	v_mov_b32_e32 v0, s14
	v_mov_b32_e32 v1, 0
	ds_add_u64 v0, v[0:1]
	s_trap 2
.LBB6_640:
	s_or_b64 exec, exec, s[12:13]
	v_ashrrev_i32_e32 v0, 31, v2
	v_lshrrev_b32_e32 v0, 26, v0
	v_add_u32_e32 v0, v2, v0
	v_ashrrev_i32_e32 v0, 6, v0
	s_trap 2
	ds_read_b64 v[2:3], v0
	v_ashrrev_i32_e32 v1, 31, v0
	v_add_co_u32_e32 v0, vcc, v10, v0
	v_addc_co_u32_e32 v1, vcc, v11, v1, vcc
	s_waitcnt lgkmcnt(0)
	v_cmp_lt_u64_e32 vcc, v[2:3], v[0:1]
	s_and_saveexec_b64 s[12:13], vcc
	s_cbranch_execz .LBB6_649
; %bb.641:
	s_mov_b32 s26, 0
	s_mov_b64 s[14:15], 0
                                        ; implicit-def: $sgpr16_sgpr17
                                        ; implicit-def: $sgpr18_sgpr19
	s_branch .LBB6_643
.LBB6_642:                              ;   in Loop: Header=BB6_643 Depth=1
	s_or_b64 exec, exec, s[24:25]
	s_and_b64 s[20:21], exec, s[22:23]
	s_or_b64 s[14:15], s[20:21], s[14:15]
	s_andn2_b64 s[16:17], s[16:17], exec
	s_and_b64 s[20:21], s[18:19], exec
	s_or_b64 s[16:17], s[16:17], s[20:21]
	s_andn2_b64 exec, exec, s[14:15]
	s_cbranch_execz .LBB6_647
.LBB6_643:                              ; =>This Inner Loop Header: Depth=1
	s_add_i32 s26, s26, 1
	s_cmpk_lg_i32 s26, 0x2710
	s_cselect_b64 s[20:21], -1, 0
	s_and_b64 vcc, exec, s[20:21]
                                        ; implicit-def: $sgpr24_sgpr25
	s_cbranch_vccnz .LBB6_645
; %bb.644:                              ;   in Loop: Header=BB6_643 Depth=1
	s_trap 2
	ds_read_b64 v[2:3], v0
	s_andn2_b64 s[20:21], s[20:21], exec
	s_mov_b32 s26, 0
	s_mov_b64 s[24:25], -1
	s_waitcnt lgkmcnt(0)
	flat_load_dword v2, v[2:3] glc
	s_waitcnt vmcnt(0) lgkmcnt(0)
	buffer_invl2
	buffer_wbinvl1_vol
	v_cmp_eq_u32_e32 vcc, 0, v2
	s_and_b64 s[22:23], vcc, exec
	s_or_b64 s[20:21], s[20:21], s[22:23]
.LBB6_645:                              ;   in Loop: Header=BB6_643 Depth=1
	s_andn2_b64 s[18:19], s[18:19], exec
	s_and_b64 s[24:25], s[24:25], exec
	s_mov_b64 s[22:23], -1
	s_or_b64 s[18:19], s[18:19], s[24:25]
	s_and_saveexec_b64 s[24:25], s[20:21]
	s_cbranch_execz .LBB6_642
; %bb.646:                              ;   in Loop: Header=BB6_643 Depth=1
	s_sleep 1
	s_trap 2
	ds_read_b64 v[2:3], v0
	s_andn2_b64 s[18:19], s[18:19], exec
	s_waitcnt lgkmcnt(0)
	v_cmp_ge_u64_e32 vcc, v[2:3], v[0:1]
	s_orn2_b64 s[22:23], vcc, exec
	s_branch .LBB6_642
.LBB6_647:
	s_or_b64 exec, exec, s[14:15]
	s_and_saveexec_b64 s[14:15], s[16:17]
	s_xor_b64 s[14:15], exec, s[14:15]
	s_cbranch_execz .LBB6_649
; %bb.648:
	v_mov_b32_e32 v0, 1
	ds_write_b32 v0, v0
	s_trap 2
.LBB6_649:
	s_or_b64 exec, exec, s[12:13]
	;;#ASMSTART
	s_wakeup
	;;#ASMEND
.LBB6_650:
	s_or_b64 exec, exec, s[10:11]
.LBB6_651:
	s_andn2_saveexec_b64 s[6:7], s[6:7]
	s_cbranch_execz .LBB6_653
; %bb.652:
	s_waitcnt vmcnt(0) lgkmcnt(0)
	buffer_wbinvl1_vol
	s_barrier
.LBB6_653:
	s_or_b64 exec, exec, s[4:5]
.LBB6_654:
	s_andn2_saveexec_b64 s[26:27], s[28:29]
	s_cbranch_execz .LBB6_656
; %bb.655:
	s_getpc_b64 s[4:5]
	s_add_u32 s4, s4, __PRETTY_FUNCTION__._ZN10PrimitivesIa7FuncSumIaE12FanSymmetricILi1EELi0E11ProtoSimpleILi2ELi2ELi0ELi4ELi0ELi0EELi0ELb0ELi0ELi0ELi0EEC2EiiPKiS8_PKvPvmhhhP15ncclDevWorkCollP14ncclDevWorkP2pii@rel32@lo+4
	s_addc_u32 s5, s5, __PRETTY_FUNCTION__._ZN10PrimitivesIa7FuncSumIaE12FanSymmetricILi1EELi0E11ProtoSimpleILi2ELi2ELi0ELi4ELi0ELi0EELi0ELb0ELi0ELi0ELi0EEC2EiiPKiS8_PKvPvmhhhP15ncclDevWorkCollP14ncclDevWorkP2pii@rel32@hi+12
	v_mov_b32_e32 v0, s4
	v_mov_b32_e32 v1, s5
	s_getpc_b64 s[6:7]
	s_add_u32 s6, s6, __assert_fail@rel32@lo+4
	s_addc_u32 s7, s7, __assert_fail@rel32@hi+12
	s_swappc_b64 s[30:31], s[6:7]
	; divergent unreachable
.LBB6_656:
	s_or_b64 exec, exec, s[26:27]
	buffer_load_dword a63, off, s[0:3], s33 ; 4-byte Folded Reload
	buffer_load_dword a62, off, s[0:3], s33 offset:4 ; 4-byte Folded Reload
	buffer_load_dword a60, off, s[0:3], s33 offset:8 ; 4-byte Folded Reload
	;; [unrolled: 1-line block ×44, first 2 shown]
	v_readlane_b32 s30, v63, 43
	v_readlane_b32 s31, v63, 44
	;; [unrolled: 1-line block ×45, first 2 shown]
	v_accvgpr_read_b32 v40, a9              ;  Reload Reuse
	v_readlane_b32 s4, v63, 45
	s_or_saveexec_b64 s[6:7], -1
	buffer_load_dword v63, off, s[0:3], s33 offset:208 ; 4-byte Folded Reload
	s_mov_b64 exec, s[6:7]
	s_addk_i32 s32, 0xc800
	s_mov_b32 s33, s4
	s_waitcnt vmcnt(0) lgkmcnt(0)
	s_setpc_b64 s[30:31]
.Lfunc_end6:
	.size	_ZN12_GLOBAL__N_17runRingIa7FuncSumIaE11ProtoSimpleILi2ELi2ELi0ELi4ELi0ELi0EELi0ELi4ELi0EEEviiP15ncclDevWorkColl, .Lfunc_end6-_ZN12_GLOBAL__N_17runRingIa7FuncSumIaE11ProtoSimpleILi2ELi2ELi0ELi4ELi0ELi0EELi0ELi4ELi0EEEviiP15ncclDevWorkColl
                                        ; -- End function
	.section	.AMDGPU.csdata,"",@progbits
; Function info:
; codeLenInByte = 26280
; NumSgprs: 81
; NumVgprs: 64
; NumAgprs: 64
; TotalNumVgprs: 128
; ScratchSize: 288
; MemoryBound: 0
	.text
	.p2align	2                               ; -- Begin function _Z50ncclDevFunc_AlltoAllPivot_RING_SIMPLE_Sum_i8_0_0_4v
	.type	_Z50ncclDevFunc_AlltoAllPivot_RING_SIMPLE_Sum_i8_0_0_4v,@function
_Z50ncclDevFunc_AlltoAllPivot_RING_SIMPLE_Sum_i8_0_0_4v: ; @_Z50ncclDevFunc_AlltoAllPivot_RING_SIMPLE_Sum_i8_0_0_4v
; %bb.0:
	s_waitcnt vmcnt(0) expcnt(0) lgkmcnt(0)
	s_mov_b32 s4, s33
	s_mov_b32 s33, s32
	s_or_saveexec_b64 s[6:7], -1
	buffer_store_dword v43, off, s[0:3], s33 offset:16 ; 4-byte Folded Spill
	s_mov_b64 exec, s[6:7]
	v_writelane_b32 v43, s4, 53
	s_addk_i32 s32, 0x800
	buffer_store_dword v40, off, s[0:3], s33 offset:12 ; 4-byte Folded Spill
	buffer_store_dword v41, off, s[0:3], s33 offset:8 ; 4-byte Folded Spill
	;; [unrolled: 1-line block ×3, first 2 shown]
	buffer_store_dword v63, off, s[0:3], s33 ; 4-byte Folded Spill
	v_writelane_b32 v43, s34, 0
	v_writelane_b32 v43, s35, 1
	v_writelane_b32 v43, s36, 2
	v_writelane_b32 v43, s37, 3
	v_writelane_b32 v43, s38, 4
	v_writelane_b32 v43, s39, 5
	v_writelane_b32 v43, s40, 6
	v_writelane_b32 v43, s41, 7
	v_writelane_b32 v43, s42, 8
	v_writelane_b32 v43, s43, 9
	v_writelane_b32 v43, s44, 10
	v_writelane_b32 v43, s45, 11
	v_writelane_b32 v43, s46, 12
	v_writelane_b32 v43, s47, 13
	v_writelane_b32 v43, s48, 14
	v_writelane_b32 v43, s49, 15
	v_writelane_b32 v43, s50, 16
	v_writelane_b32 v43, s51, 17
	v_writelane_b32 v43, s52, 18
	v_writelane_b32 v43, s53, 19
	v_writelane_b32 v43, s54, 20
	v_writelane_b32 v43, s55, 21
	v_writelane_b32 v43, s56, 22
	v_writelane_b32 v43, s57, 23
	v_writelane_b32 v43, s58, 24
	v_writelane_b32 v43, s59, 25
	v_writelane_b32 v43, s60, 26
	v_writelane_b32 v43, s61, 27
	v_writelane_b32 v43, s62, 28
	v_writelane_b32 v43, s63, 29
	v_writelane_b32 v43, s64, 30
	v_writelane_b32 v43, s65, 31
	v_writelane_b32 v43, s66, 32
	v_writelane_b32 v43, s67, 33
	v_writelane_b32 v43, s68, 34
	v_writelane_b32 v43, s69, 35
	v_writelane_b32 v43, s70, 36
	v_writelane_b32 v43, s71, 37
	v_writelane_b32 v43, s72, 38
	v_writelane_b32 v43, s73, 39
	v_writelane_b32 v43, s74, 40
	v_writelane_b32 v43, s75, 41
	v_writelane_b32 v43, s76, 42
	v_writelane_b32 v43, s77, 43
	v_writelane_b32 v43, s78, 44
	v_writelane_b32 v43, s79, 45
	v_writelane_b32 v43, s80, 46
	v_writelane_b32 v43, s81, 47
	v_writelane_b32 v43, s82, 48
	v_writelane_b32 v43, s83, 49
	v_writelane_b32 v43, s84, 50
	v_writelane_b32 v43, s30, 51
	v_writelane_b32 v43, s31, 52
	s_trap 2
	ds_read_b32 v0, v0
	v_mov_b32_e32 v40, v31
	s_mov_b32 s77, s12
	s_mov_b64 s[78:79], s[8:9]
	s_waitcnt lgkmcnt(0)
	v_cmp_gt_i32_e32 vcc, 1, v0
	s_cbranch_vccnz .LBB7_8
; %bb.1:
	s_mov_b32 s84, 0
	v_and_b32_e32 v41, 0x3ff, v40
	s_mov_b64 s[80:81], src_shared_base
	v_mov_b32_e32 v42, 6
	s_branch .LBB7_3
.LBB7_2:                                ;   in Loop: Header=BB7_3 Depth=1
	s_or_b64 exec, exec, s[82:83]
	s_trap 2
	ds_read_b32 v0, v0
	s_add_i32 s84, s84, 1
	s_waitcnt lgkmcnt(0)
	v_cmp_lt_i32_e32 vcc, s84, v0
	s_cbranch_vccz .LBB7_8
.LBB7_3:                                ; =>This Inner Loop Header: Depth=1
	s_trap 2
	ds_read_b32 v0, v0
	s_cmp_eq_u32 s84, 0
	s_cbranch_scc1 .LBB7_6
; %bb.4:                                ;   in Loop: Header=BB7_3 Depth=1
	s_trap 2
	s_waitcnt lgkmcnt(0)
	ds_read_b32 v1, v0
	s_waitcnt lgkmcnt(0)
	v_xor_b32_e32 v1, v1, v0
	v_and_b32_e32 v1, 0xff0000, v1
	v_cmp_eq_u32_e32 vcc, 0, v1
	s_cbranch_vccnz .LBB7_6
; %bb.5:                                ;   in Loop: Header=BB7_3 Depth=1
	s_barrier
	ds_read_b32 v0, v0
.LBB7_6:                                ;   in Loop: Header=BB7_3 Depth=1
	s_waitcnt lgkmcnt(0)
	v_lshlrev_b32_sdwa v1, v42, v0 dst_sel:DWORD dst_unused:UNUSED_PAD src0_sel:DWORD src1_sel:BYTE_2
	v_cmp_lt_u32_e32 vcc, v41, v1
	s_and_saveexec_b64 s[82:83], vcc
	s_cbranch_execz .LBB7_2
; %bb.7:                                ;   in Loop: Header=BB7_3 Depth=1
	s_mov_b64 s[8:9], s[78:79]
	s_mov_b32 s12, s77
	v_mov_b32_e32 v31, v40
	v_mov_b32_e32 v0, v41
	;; [unrolled: 1-line block ×3, first 2 shown]
	s_getpc_b64 s[4:5]
	s_add_u32 s4, s4, _ZN12_GLOBAL__N_17runRingIa7FuncSumIaE11ProtoSimpleILi2ELi2ELi0ELi4ELi0ELi0EELi0ELi4ELi0EEEviiP15ncclDevWorkColl@rel32@lo+4
	s_addc_u32 s5, s5, _ZN12_GLOBAL__N_17runRingIa7FuncSumIaE11ProtoSimpleILi2ELi2ELi0ELi4ELi0ELi0EELi0ELi4ELi0EEEviiP15ncclDevWorkColl@rel32@hi+12
	s_swappc_b64 s[30:31], s[4:5]
	s_branch .LBB7_2
.LBB7_8:
	buffer_load_dword v63, off, s[0:3], s33 ; 4-byte Folded Reload
	buffer_load_dword v42, off, s[0:3], s33 offset:4 ; 4-byte Folded Reload
	buffer_load_dword v41, off, s[0:3], s33 offset:8 ; 4-byte Folded Reload
	;; [unrolled: 1-line block ×3, first 2 shown]
	v_readlane_b32 s30, v43, 51
	v_readlane_b32 s31, v43, 52
	;; [unrolled: 1-line block ×54, first 2 shown]
	s_or_saveexec_b64 s[6:7], -1
	buffer_load_dword v43, off, s[0:3], s33 offset:16 ; 4-byte Folded Reload
	s_mov_b64 exec, s[6:7]
	s_addk_i32 s32, 0xf800
	s_mov_b32 s33, s4
	s_waitcnt vmcnt(0)
	s_setpc_b64 s[30:31]
.Lfunc_end7:
	.size	_Z50ncclDevFunc_AlltoAllPivot_RING_SIMPLE_Sum_i8_0_0_4v, .Lfunc_end7-_Z50ncclDevFunc_AlltoAllPivot_RING_SIMPLE_Sum_i8_0_0_4v
                                        ; -- End function
	.section	.AMDGPU.csdata,"",@progbits
; Function info:
; codeLenInByte = 1228
; NumSgprs: 89
; NumVgprs: 64
; NumAgprs: 64
; TotalNumVgprs: 128
; ScratchSize: 320
; MemoryBound: 0
	.text
	.p2alignl 6, 3212836864
	.fill 256, 4, 3212836864
	.type	__const.__assert_fail.fmt,@object ; @__const.__assert_fail.fmt
	.section	.rodata.str1.16,"aMS",@progbits,1
	.p2align	4, 0x0
__const.__assert_fail.fmt:
	.asciz	"%s:%u: %s: Device-side assertion `%s' failed.\n"
	.size	__const.__assert_fail.fmt, 47

	.type	.str.1,@object                  ; @.str.1
	.section	.rodata.str1.1,"aMS",@progbits,1
.str.1:
	.asciz	"2*(nrecv+nsend) <= nthreads"
	.size	.str.1, 28

	.type	.str.2,@object                  ; @.str.2
.str.2:
	.asciz	"/root/src/amdgpu-assembly/repos/ROCm__rccl/hipify/src/device/prims_simple.h"
	.size	.str.2, 76

	.type	__PRETTY_FUNCTION__._ZN10PrimitivesIa7FuncSumIaE12FanSymmetricILi1EELi0E11ProtoSimpleILi2ELi2ELi0ELi1ELi0ELi0EELi0ELb0ELi0ELi0ELi0EEC2EiiPKiS8_PKvPvmhhhP15ncclDevWorkCollP14ncclDevWorkP2pii,@object ; @__PRETTY_FUNCTION__._ZN10PrimitivesIa7FuncSumIaE12FanSymmetricILi1EELi0E11ProtoSimpleILi2ELi2ELi0ELi1ELi0ELi0EELi0ELb0ELi0ELi0ELi0EEC2EiiPKiS8_PKvPvmhhhP15ncclDevWorkCollP14ncclDevWorkP2pii
__PRETTY_FUNCTION__._ZN10PrimitivesIa7FuncSumIaE12FanSymmetricILi1EELi0E11ProtoSimpleILi2ELi2ELi0ELi1ELi0ELi0EELi0ELb0ELi0ELi0ELi0EEC2EiiPKiS8_PKvPvmhhhP15ncclDevWorkCollP14ncclDevWorkP2pii:
	.asciz	"Primitives<signed char, FuncSum<signed char>, FanSymmetric<1>, 0, ProtoSimple<2, 2, 0, 1>, 0>::Primitives(int, int, const int *, const int *, const void *, void *, uint64_t, uint8_t, uint8_t, uint8_t, struct ncclDevWorkColl *, struct ncclDevWorkP2p *, int, int) [T = signed char, RedOp = FuncSum<signed char>, Fan = FanSymmetric<1>, Direct = 0, Proto = ProtoSimple<2, 2, 0, 1>, P2p = 0, isNetOffload = false, Metadata = 0, Pipeline = 0, useAcc = 0]"
	.size	__PRETTY_FUNCTION__._ZN10PrimitivesIa7FuncSumIaE12FanSymmetricILi1EELi0E11ProtoSimpleILi2ELi2ELi0ELi1ELi0ELi0EELi0ELb0ELi0ELi0ELi0EEC2EiiPKiS8_PKvPvmhhhP15ncclDevWorkCollP14ncclDevWorkP2pii, 449

	.type	__PRETTY_FUNCTION__._ZN10PrimitivesIa7FuncSumIaE12FanSymmetricILi1EELi0E11ProtoSimpleILi2ELi2ELi0ELi2ELi0ELi0EELi0ELb0ELi0ELi0ELi0EEC2EiiPKiS8_PKvPvmhhhP15ncclDevWorkCollP14ncclDevWorkP2pii,@object ; @__PRETTY_FUNCTION__._ZN10PrimitivesIa7FuncSumIaE12FanSymmetricILi1EELi0E11ProtoSimpleILi2ELi2ELi0ELi2ELi0ELi0EELi0ELb0ELi0ELi0ELi0EEC2EiiPKiS8_PKvPvmhhhP15ncclDevWorkCollP14ncclDevWorkP2pii
__PRETTY_FUNCTION__._ZN10PrimitivesIa7FuncSumIaE12FanSymmetricILi1EELi0E11ProtoSimpleILi2ELi2ELi0ELi2ELi0ELi0EELi0ELb0ELi0ELi0ELi0EEC2EiiPKiS8_PKvPvmhhhP15ncclDevWorkCollP14ncclDevWorkP2pii:
	.asciz	"Primitives<signed char, FuncSum<signed char>, FanSymmetric<1>, 0, ProtoSimple<2, 2, 0, 2>, 0>::Primitives(int, int, const int *, const int *, const void *, void *, uint64_t, uint8_t, uint8_t, uint8_t, struct ncclDevWorkColl *, struct ncclDevWorkP2p *, int, int) [T = signed char, RedOp = FuncSum<signed char>, Fan = FanSymmetric<1>, Direct = 0, Proto = ProtoSimple<2, 2, 0, 2>, P2p = 0, isNetOffload = false, Metadata = 0, Pipeline = 0, useAcc = 0]"
	.size	__PRETTY_FUNCTION__._ZN10PrimitivesIa7FuncSumIaE12FanSymmetricILi1EELi0E11ProtoSimpleILi2ELi2ELi0ELi2ELi0ELi0EELi0ELb0ELi0ELi0ELi0EEC2EiiPKiS8_PKvPvmhhhP15ncclDevWorkCollP14ncclDevWorkP2pii, 449

	.type	__PRETTY_FUNCTION__._ZN10PrimitivesIa7FuncSumIaE12FanSymmetricILi1EELi0E11ProtoSimpleILi2ELi2ELi0ELi4ELi0ELi0EELi0ELb0ELi0ELi0ELi0EEC2EiiPKiS8_PKvPvmhhhP15ncclDevWorkCollP14ncclDevWorkP2pii,@object ; @__PRETTY_FUNCTION__._ZN10PrimitivesIa7FuncSumIaE12FanSymmetricILi1EELi0E11ProtoSimpleILi2ELi2ELi0ELi4ELi0ELi0EELi0ELb0ELi0ELi0ELi0EEC2EiiPKiS8_PKvPvmhhhP15ncclDevWorkCollP14ncclDevWorkP2pii
__PRETTY_FUNCTION__._ZN10PrimitivesIa7FuncSumIaE12FanSymmetricILi1EELi0E11ProtoSimpleILi2ELi2ELi0ELi4ELi0ELi0EELi0ELb0ELi0ELi0ELi0EEC2EiiPKiS8_PKvPvmhhhP15ncclDevWorkCollP14ncclDevWorkP2pii:
	.asciz	"Primitives<signed char, FuncSum<signed char>, FanSymmetric<1>, 0, ProtoSimple<2, 2, 0, 4>, 0>::Primitives(int, int, const int *, const int *, const void *, void *, uint64_t, uint8_t, uint8_t, uint8_t, struct ncclDevWorkColl *, struct ncclDevWorkP2p *, int, int) [T = signed char, RedOp = FuncSum<signed char>, Fan = FanSymmetric<1>, Direct = 0, Proto = ProtoSimple<2, 2, 0, 4>, P2p = 0, isNetOffload = false, Metadata = 0, Pipeline = 0, useAcc = 0]"
	.size	__PRETTY_FUNCTION__._ZN10PrimitivesIa7FuncSumIaE12FanSymmetricILi1EELi0E11ProtoSimpleILi2ELi2ELi0ELi4ELi0ELi0EELi0ELb0ELi0ELi0ELi0EEC2EiiPKiS8_PKvPvmhhhP15ncclDevWorkCollP14ncclDevWorkP2pii, 449

	.type	__hip_cuid_d1d767565fb783d5,@object ; @__hip_cuid_d1d767565fb783d5
	.section	.bss,"aw",@nobits
	.globl	__hip_cuid_d1d767565fb783d5
__hip_cuid_d1d767565fb783d5:
	.byte	0                               ; 0x0
	.size	__hip_cuid_d1d767565fb783d5, 1

	.ident	"AMD clang version 19.0.0git (https://github.com/RadeonOpenCompute/llvm-project roc-6.4.0 25133 c7fe45cf4b819c5991fe208aaa96edf142730f1d)"
	.section	".note.GNU-stack","",@progbits
	.addrsig
	.addrsig_sym _Z50ncclDevFunc_AlltoAllPivot_RING_SIMPLE_Sum_i8_0_0_1v
	.addrsig_sym _Z50ncclDevFunc_AlltoAllPivot_RING_SIMPLE_Sum_i8_0_0_2v
	.addrsig_sym _Z50ncclDevFunc_AlltoAllPivot_RING_SIMPLE_Sum_i8_0_0_4v
	.addrsig_sym ncclShmem
	.addrsig_sym __hip_cuid_d1d767565fb783d5
	.amdgpu_metadata
---
amdhsa.kernels:  []
amdhsa.target:   amdgcn-amd-amdhsa--gfx90a
amdhsa.version:
  - 1
  - 2
...

	.end_amdgpu_metadata
